;; amdgpu-corpus repo=ROCm/Tensile kind=harvested arch=n/a opt=n/a

/******************************************/
/* Function Prefix                        */
/******************************************/



/******************************************/
/* Begin Kernel                           */
/******************************************/

// Component.Signature.SignatureDefault
.amdgcn_target "amdgcn-amd-amdhsa--gfx942"
.text
.protected Cijk_Alik_Bjlk_ZB_MT64x80x16_MI16x16x4x1_SN_1LDSB1_APM1_AF0EM1_AF1EM1_AMAS0_ASGT_ASLT065_ASEM1_BL1_BS1_CLR0_DTVA0_DTVB0_ETB_EPS1_ELFLR0_EMLL0_FSSC10_FL0_GLVWA1_GLVWB1_GRCGA1_GRCGB1_GRVWn1_GSU2_GSUAMB_GLS0_IU1_K1_LBSPPA256_LBSPPB0_LPA2_LPB0_LRVW1_MIAV1_MKFGSU256_NTA0_NTB4_NTC0_NTD0_NEPBS2_NLCA1_NLCB5_ONLL1_PK0_PGR2_PLR5_PKA0_SIA3_SS1_SU0_SUM0_SUS0_SPO0_SRVW0_SSO0_SVW1_TSGRA0_TSGRB0_TT1_80_TLDS1_UMLDSA1_UMLDSB0_USFGROn1_VAW1_VSn1_VW1_VWB1_VFLRP0_WSGRA0_WSGRB0_WG64_4_1_WGM1
.globl Cijk_Alik_Bjlk_ZB_MT64x80x16_MI16x16x4x1_SN_1LDSB1_APM1_AF0EM1_AF1EM1_AMAS0_ASGT_ASLT065_ASEM1_BL1_BS1_CLR0_DTVA0_DTVB0_ETB_EPS1_ELFLR0_EMLL0_FSSC10_FL0_GLVWA1_GLVWB1_GRCGA1_GRCGB1_GRVWn1_GSU2_GSUAMB_GLS0_IU1_K1_LBSPPA256_LBSPPB0_LPA2_LPB0_LRVW1_MIAV1_MKFGSU256_NTA0_NTB4_NTC0_NTD0_NEPBS2_NLCA1_NLCB5_ONLL1_PK0_PGR2_PLR5_PKA0_SIA3_SS1_SU0_SUM0_SUS0_SPO0_SRVW0_SSO0_SVW1_TSGRA0_TSGRB0_TT1_80_TLDS1_UMLDSA1_UMLDSB0_USFGROn1_VAW1_VSn1_VW1_VWB1_VFLRP0_WSGRA0_WSGRB0_WG64_4_1_WGM1
.p2align 8
.type Cijk_Alik_Bjlk_ZB_MT64x80x16_MI16x16x4x1_SN_1LDSB1_APM1_AF0EM1_AF1EM1_AMAS0_ASGT_ASLT065_ASEM1_BL1_BS1_CLR0_DTVA0_DTVB0_ETB_EPS1_ELFLR0_EMLL0_FSSC10_FL0_GLVWA1_GLVWB1_GRCGA1_GRCGB1_GRVWn1_GSU2_GSUAMB_GLS0_IU1_K1_LBSPPA256_LBSPPB0_LPA2_LPB0_LRVW1_MIAV1_MKFGSU256_NTA0_NTB4_NTC0_NTD0_NEPBS2_NLCA1_NLCB5_ONLL1_PK0_PGR2_PLR5_PKA0_SIA3_SS1_SU0_SUM0_SUS0_SPO0_SRVW0_SSO0_SVW1_TSGRA0_TSGRB0_TT1_80_TLDS1_UMLDSA1_UMLDSB0_USFGROn1_VAW1_VSn1_VW1_VWB1_VFLRP0_WSGRA0_WSGRB0_WG64_4_1_WGM1,@function
.section .rodata,#alloc
.p2align 6
.amdhsa_kernel Cijk_Alik_Bjlk_ZB_MT64x80x16_MI16x16x4x1_SN_1LDSB1_APM1_AF0EM1_AF1EM1_AMAS0_ASGT_ASLT065_ASEM1_BL1_BS1_CLR0_DTVA0_DTVB0_ETB_EPS1_ELFLR0_EMLL0_FSSC10_FL0_GLVWA1_GLVWB1_GRCGA1_GRCGB1_GRVWn1_GSU2_GSUAMB_GLS0_IU1_K1_LBSPPA256_LBSPPB0_LPA2_LPB0_LRVW1_MIAV1_MKFGSU256_NTA0_NTB4_NTC0_NTD0_NEPBS2_NLCA1_NLCB5_ONLL1_PK0_PGR2_PLR5_PKA0_SIA3_SS1_SU0_SUM0_SUS0_SPO0_SRVW0_SSO0_SVW1_TSGRA0_TSGRB0_TT1_80_TLDS1_UMLDSA1_UMLDSB0_USFGROn1_VAW1_VSn1_VW1_VWB1_VFLRP0_WSGRA0_WSGRB0_WG64_4_1_WGM1
  .amdhsa_user_sgpr_kernarg_segment_ptr 1
  .amdhsa_user_sgpr_kernarg_preload_offset 0
  .amdhsa_user_sgpr_kernarg_preload_length 0
  .amdhsa_user_sgpr_count 2
  .amdhsa_accum_offset 256 // accvgpr offset
  .amdhsa_next_free_vgpr 256 // vgprs
  .amdhsa_next_free_sgpr 70 // sgprs
  .amdhsa_group_segment_fixed_size 38912 // lds bytes
  .amdhsa_private_segment_fixed_size 0
  .amdhsa_system_sgpr_workgroup_id_x 1
  .amdhsa_system_sgpr_workgroup_id_y 1
  .amdhsa_system_sgpr_workgroup_id_z 1
  .amdhsa_system_vgpr_workitem_id 0
  .amdhsa_float_denorm_mode_32 3
  .amdhsa_float_denorm_mode_16_64 3
.end_amdhsa_kernel
.text

/******************************************/
/* Optimizations and Config:              */
/******************************************/
/* ThreadTile= 4 x 5 */
/* SubGroup= 16 x 16 */
/* VectorWidthA=1 */
/* VectorWidthB=1 */
/* GlobalLoadVectorWidthA=1, GlobalLoadVectorWidthB=1 */
/* DirectToLdsA=False */
/* DirectToLdsB=False */
/* UseSgprForGRO=1 */
.amdgpu_metadata
---
amdhsa.version:
  - 1
  - 1
amdhsa.target: amdgcn-amd-amdhsa--gfx942
amdhsa.kernels:
  - .name: Cijk_Alik_Bjlk_ZB_MT64x80x16_MI16x16x4x1_SN_1LDSB1_APM1_AF0EM1_AF1EM1_AMAS0_ASGT_ASLT065_ASEM1_BL1_BS1_CLR0_DTVA0_DTVB0_ETB_EPS1_ELFLR0_EMLL0_FSSC10_FL0_GLVWA1_GLVWB1_GRCGA1_GRCGB1_GRVWn1_GSU2_GSUAMB_GLS0_IU1_K1_LBSPPA256_LBSPPB0_LPA2_LPB0_LRVW1_MIAV1_MKFGSU256_NTA0_NTB4_NTC0_NTD0_NEPBS2_NLCA1_NLCB5_ONLL1_PK0_PGR2_PLR5_PKA0_SIA3_SS1_SU0_SUM0_SUS0_SPO0_SRVW0_SSO0_SVW1_TSGRA0_TSGRB0_TT1_80_TLDS1_UMLDSA1_UMLDSB0_USFGROn1_VAW1_VSn1_VW1_VWB1_VFLRP0_WSGRA0_WSGRB0_WG64_4_1_WGM1
    .symbol: 'Cijk_Alik_Bjlk_ZB_MT64x80x16_MI16x16x4x1_SN_1LDSB1_APM1_AF0EM1_AF1EM1_AMAS0_ASGT_ASLT065_ASEM1_BL1_BS1_CLR0_DTVA0_DTVB0_ETB_EPS1_ELFLR0_EMLL0_FSSC10_FL0_GLVWA1_GLVWB1_GRCGA1_GRCGB1_GRVWn1_GSU2_GSUAMB_GLS0_IU1_K1_LBSPPA256_LBSPPB0_LPA2_LPB0_LRVW1_MIAV1_MKFGSU256_NTA0_NTB4_NTC0_NTD0_NEPBS2_NLCA1_NLCB5_ONLL1_PK0_PGR2_PLR5_PKA0_SIA3_SS1_SU0_SUM0_SUS0_SPO0_SRVW0_SSO0_SVW1_TSGRA0_TSGRB0_TT1_80_TLDS1_UMLDSA1_UMLDSB0_USFGROn1_VAW1_VSn1_VW1_VWB1_VFLRP0_WSGRA0_WSGRB0_WG64_4_1_WGM1.kd'
    .language:                   OpenCL C
    .language_version:
      - 2
      - 0
    .args:
      - .name:            Tensor2dSizeA
        .size:            8
        .offset:          0
        .value_kind:      by_value
        .value_type:      u64
      - .name:            Tensor2dSizeB
        .size:            8
        .offset:          8
        .value_kind:      by_value
        .value_type:      u64
      - .name:            AddressD
        .size:            8
        .offset:          16
        .value_kind:      by_value
        .value_type:      u64
      - .name:            AddressC
        .size:            8
        .offset:          24
        .value_kind:      by_value
        .value_type:      u64
      - .name:            AddressA
        .size:            8
        .offset:          32
        .value_kind:      by_value
        .value_type:      u64
      - .name:            AddressB
        .size:            8
        .offset:          40
        .value_kind:      by_value
        .value_type:      u64
      - .name:            Alpha
        .size:            16
        .offset:          48
        .value_kind:      by_value
        .value_type:      u128
      - .name:            Beta
        .size:            16
        .offset:          64
        .value_kind:      by_value
        .value_type:      u128
      - .name:            StridesD
        .size:            8
        .offset:          80
        .value_kind:      by_value
        .value_type:      u64
      - .name:            StridesC
        .size:            8
        .offset:          88
        .value_kind:      by_value
        .value_type:      u64
      - .name:            StridesA
        .size:            8
        .offset:          96
        .value_kind:      by_value
        .value_type:      u64
      - .name:            StridesB
        .size:            8
        .offset:          104
        .value_kind:      by_value
        .value_type:      u64
      - .name:            SizesFree
        .size:            12
        .offset:          112
        .value_kind:      by_value
        .value_type:      u96
      - .name:            SizesSum
        .size:            4
        .offset:          124
        .value_kind:      by_value
        .value_type:      u32
      - .name:            NumWorkGroups0
        .size:            4
        .offset:          128
        .value_kind:      by_value
        .value_type:      u32
      - .name:            NumWorkGroups1
        .size:            4
        .offset:          132
        .value_kind:      by_value
        .value_type:      u32
    .group_segment_fixed_size:   38912
    .kernarg_segment_align:      8
    .kernarg_segment_size:       136
    .max_flat_workgroup_size:    256
    .private_segment_fixed_size: 0
    .sgpr_count:                 70
    .sgpr_spill_count:           0
    .vgpr_count:                 256
    .vgpr_spill_count:           0
    .wavefront_size:             64
...
.end_amdgpu_metadata
Cijk_Alik_Bjlk_ZB_MT64x80x16_MI16x16x4x1_SN_1LDSB1_APM1_AF0EM1_AF1EM1_AMAS0_ASGT_ASLT065_ASEM1_BL1_BS1_CLR0_DTVA0_DTVB0_ETB_EPS1_ELFLR0_EMLL0_FSSC10_FL0_GLVWA1_GLVWB1_GRCGA1_GRCGB1_GRVWn1_GSU2_GSUAMB_GLS0_IU1_K1_LBSPPA256_LBSPPB0_LPA2_LPB0_LRVW1_MIAV1_MKFGSU256_NTA0_NTB4_NTC0_NTD0_NEPBS2_NLCA1_NLCB5_ONLL1_PK0_PGR2_PLR5_PKA0_SIA3_SS1_SU0_SUM0_SUS0_SPO0_SRVW0_SSO0_SVW1_TSGRA0_TSGRB0_TT1_80_TLDS1_UMLDSA1_UMLDSB0_USFGROn1_VAW1_VSn1_VW1_VWB1_VFLRP0_WSGRA0_WSGRB0_WG64_4_1_WGM1:

/******************************************/
/* Asm syntax workarounds                 */
/******************************************/
.macro _v_add_co_u32 dst:req, cc:req, src0:req, src1:req, dpp=
   v_add_co_u32 \dst, \cc, \src0, \src1 \dpp
.endm

.macro _v_add_u32 dst:req, src0:req, src1:req, dpp=
   v_add_u32 \dst, \src0, \src1 \dpp
.endm

.macro _v_add_i32 dst:req, src0:req, src1:req, dpp=
   v_add_i32 \dst, \src0, \src1 \dpp
.endm

.macro _v_addc_co_u32 dst:req, ccOut:req, src0:req, ccIn:req, src1:req, dpp=
   v_addc_co_u32 \dst, \ccOut, \src0, \ccIn, \src1 \dpp
.endm

.macro _v_sub_co_u32 dst:req, cc:req, src0:req, src1:req, dpp=
   v_sub_co_u32 \dst, \cc, \src0, \src1 \dpp
.endm

.macro _v_sub_u32 dst:req, src0:req, src1:req, dpp=
   v_sub_u32 \dst, \src0, \src1 \dpp
.endm

.macro _v_sub_i32 dst:req, src0:req, src1:req, dpp=
   v_sub_i32 \dst, \src0, \src1 \dpp
.endm

.macro _v_add_lshl_u32 dst:req, src0:req, src1:req, shiftCnt:req
    v_add_lshl_u32 \dst, \src0, \src1, \shiftCnt
.endm

.macro _v_lshl_add_u32 dst:req, src0:req, src1:req, shiftCnt:req
    v_lshl_add_u32 \dst, \src0, \src1, \shiftCnt
.endm

.macro _v_lshl_or_b32 dst:req, src0:req, shiftCnt:req, src1:req
    v_lshl_or_b32 \dst, \src0, \shiftCnt, \src1
.endm

.macro _v_dot2acc_f32_f16 dst, src0, src1
v_dot2c_f32_f16 \dst, \src0, \src1
.endm

.macro _v_cmpx_lt_i16 dst, src0, src1=
   v_cmpx_lt_i16 \dst, \src0, \src1 
.endm

.macro _v_cmpx_lt_i32 dst, src0, src1=
   v_cmpx_lt_i32 \dst, \src0, \src1 
.endm

.macro _v_cmpx_lt_i64 dst, src0, src1=
   v_cmpx_lt_i64 \dst, \src0, \src1 
.endm

.macro _v_cmpx_lt_u16 dst, src0, src1=
   v_cmpx_lt_u16 \dst, \src0, \src1 
.endm

.macro _v_cmpx_lt_u32 dst, src0, src1=
   v_cmpx_lt_u32 \dst, \src0, \src1 
.endm

.macro _v_cmpx_lt_u64 dst, src0, src1=
   v_cmpx_lt_u64 \dst, \src0, \src1 
.endm

.macro _v_cmpx_eq_i16 dst, src0, src1=
   v_cmpx_eq_i16 \dst, \src0, \src1 
.endm

.macro _v_cmpx_eq_i32 dst, src0, src1=
   v_cmpx_eq_i32 \dst, \src0, \src1 
.endm

.macro _v_cmpx_eq_i64 dst, src0, src1=
   v_cmpx_eq_i64 \dst, \src0, \src1 
.endm

.macro _v_cmpx_eq_u16 dst, src0, src1=
   v_cmpx_eq_u16 \dst, \src0, \src1 
.endm

.macro _v_cmpx_eq_u32 dst, src0, src1=
   v_cmpx_eq_u32 \dst, \src0, \src1 
.endm

.macro _v_cmpx_eq_u64 dst, src0, src1=
   v_cmpx_eq_u64 \dst, \src0, \src1 
.endm

.macro _v_cmpx_le_i16 dst, src0, src1=
   v_cmpx_le_i16 \dst, \src0, \src1 
.endm

.macro _v_cmpx_le_i32 dst, src0, src1=
   v_cmpx_le_i32 \dst, \src0, \src1 
.endm

.macro _v_cmpx_le_i64 dst, src0, src1=
   v_cmpx_le_i64 \dst, \src0, \src1 
.endm

.macro _v_cmpx_le_u16 dst, src0, src1=
   v_cmpx_le_u16 \dst, \src0, \src1 
.endm

.macro _v_cmpx_le_u32 dst, src0, src1=
   v_cmpx_le_u32 \dst, \src0, \src1 
.endm

.macro _v_cmpx_le_u64 dst, src0, src1=
   v_cmpx_le_u64 \dst, \src0, \src1 
.endm

.macro _v_cmpx_gt_i16 dst, src0, src1=
   v_cmpx_gt_i16 \dst, \src0, \src1 
.endm

.macro _v_cmpx_gt_i32 dst, src0, src1=
   v_cmpx_gt_i32 \dst, \src0, \src1 
.endm

.macro _v_cmpx_gt_i64 dst, src0, src1=
   v_cmpx_gt_i64 \dst, \src0, \src1 
.endm

.macro _v_cmpx_gt_u16 dst, src0, src1=
   v_cmpx_gt_u16 \dst, \src0, \src1 
.endm

.macro _v_cmpx_gt_u32 dst, src0, src1=
   v_cmpx_gt_u32 \dst, \src0, \src1 
.endm

.macro _v_cmpx_gt_u64 dst, src0, src1=
   v_cmpx_gt_u64 \dst, \src0, \src1 
.endm

.macro _v_cmpx_ne_i16 dst, src0, src1=
   v_cmpx_ne_i16 \dst, \src0, \src1 
.endm

.macro _v_cmpx_ne_i32 dst, src0, src1=
   v_cmpx_ne_i32 \dst, \src0, \src1 
.endm

.macro _v_cmpx_ne_i64 dst, src0, src1=
   v_cmpx_ne_i64 \dst, \src0, \src1 
.endm

.macro _v_cmpx_ne_u16 dst, src0, src1=
   v_cmpx_ne_u16 \dst, \src0, \src1 
.endm

.macro _v_cmpx_ne_u32 dst, src0, src1=
   v_cmpx_ne_u32 \dst, \src0, \src1 
.endm

.macro _v_cmpx_ne_u64 dst, src0, src1=
   v_cmpx_ne_u64 \dst, \src0, \src1 
.endm

.macro _v_cmpx_lg_i16 dst, src0, src1=
   v_cmpx_lg_i16 \dst, \src0, \src1 
.endm

.macro _v_cmpx_lg_i32 dst, src0, src1=
   v_cmpx_lg_i32 \dst, \src0, \src1 
.endm

.macro _v_cmpx_lg_i64 dst, src0, src1=
   v_cmpx_lg_i64 \dst, \src0, \src1 
.endm

.macro _v_cmpx_lg_u16 dst, src0, src1=
   v_cmpx_lg_u16 \dst, \src0, \src1 
.endm

.macro _v_cmpx_lg_u32 dst, src0, src1=
   v_cmpx_lg_u32 \dst, \src0, \src1 
.endm

.macro _v_cmpx_lg_u64 dst, src0, src1=
   v_cmpx_lg_u64 \dst, \src0, \src1 
.endm

.macro _v_cmpx_ge_i16 dst, src0, src1=
   v_cmpx_ge_i16 \dst, \src0, \src1 
.endm

.macro _v_cmpx_ge_i32 dst, src0, src1=
   v_cmpx_ge_i32 \dst, \src0, \src1 
.endm

.macro _v_cmpx_ge_i64 dst, src0, src1=
   v_cmpx_ge_i64 \dst, \src0, \src1 
.endm

.macro _v_cmpx_ge_u16 dst, src0, src1=
   v_cmpx_ge_u16 \dst, \src0, \src1 
.endm

.macro _v_cmpx_ge_u32 dst, src0, src1=
   v_cmpx_ge_u32 \dst, \src0, \src1 
.endm

.macro _v_cmpx_ge_u64 dst, src0, src1=
   v_cmpx_ge_u64 \dst, \src0, \src1 
.endm

.macro _v_cmpx_o_i16 dst, src0, src1=
   v_cmpx_o_i16 \dst, \src0, \src1 
.endm

.macro _v_cmpx_o_i32 dst, src0, src1=
   v_cmpx_o_i32 \dst, \src0, \src1 
.endm

.macro _v_cmpx_o_i64 dst, src0, src1=
   v_cmpx_o_i64 \dst, \src0, \src1 
.endm

.macro _v_cmpx_o_u16 dst, src0, src1=
   v_cmpx_o_u16 \dst, \src0, \src1 
.endm

.macro _v_cmpx_o_u32 dst, src0, src1=
   v_cmpx_o_u32 \dst, \src0, \src1 
.endm

.macro _v_cmpx_o_u64 dst, src0, src1=
   v_cmpx_o_u64 \dst, \src0, \src1 
.endm

.macro _v_cmpx_u_i16 dst, src0, src1=
   v_cmpx_u_i16 \dst, \src0, \src1 
.endm

.macro _v_cmpx_u_i32 dst, src0, src1=
   v_cmpx_u_i32 \dst, \src0, \src1 
.endm

.macro _v_cmpx_u_i64 dst, src0, src1=
   v_cmpx_u_i64 \dst, \src0, \src1 
.endm

.macro _v_cmpx_u_u16 dst, src0, src1=
   v_cmpx_u_u16 \dst, \src0, \src1 
.endm

.macro _v_cmpx_u_u32 dst, src0, src1=
   v_cmpx_u_u32 \dst, \src0, \src1 
.endm

.macro _v_cmpx_u_u64 dst, src0, src1=
   v_cmpx_u_u64 \dst, \src0, \src1 
.endm
.macro _v_mac_f32 c:req, a:req, b:req
    v_fmac_f32 \c, \a, \b
.endmacro

/* scale global load macros */
.macro _s_load_b32 dst base offset
    s_load_dword \dst \base \offset
.endm

.macro _s_load_b64 dst base offset
    s_load_dwordx2 \dst \base \offset
.endm

.macro _s_load_b128 dst base offset
    s_load_dwordx4 \dst \base \offset
.endm

.macro _s_load_b256 dst base offset
    s_load_dwordx8 \dst \base \offset
.endm

.macro _s_load_b512 dst base offset
    s_load_dwordx16 \dst \base \offset
.endm


/* ds operation macros */
.macro _ds_load_u8 dst src offset
    ds_read_u8 \dst \src \offset
.endm

.macro _ds_load_u8_d16_hi dst src offset
    ds_read_u8_d16_hi \dst \src \offset
.endm

.macro _ds_load_u16 dst src offset
    ds_read_u16 \dst \src \offset
.endm

.macro _ds_load_u16_d16_hi dst src offset
    ds_read_u16_d16_hi \dst \src \offset
.endm

.macro _ds_load_b32 dst src offset
    ds_read_b32 \dst \src \offset
.endm

.macro _ds_load_b64 dst src offset
    ds_read_b64 \dst \src \offset
.endm

.macro _ds_load_b128 dst src offset
    ds_read_b128 \dst \src \offset
.endm

.macro _ds_store_b8 dst src offset
    ds_write_b8 \dst \src \offset
.endm

.macro _ds_store_b8_d16_hi dst src offset
    ds_write_b8_d16_hi \dst \src \offset
.endm

.macro _ds_store_b16 dst src offset
    ds_write_b16 \dst \src \offset
.endm

.macro _ds_store_b16_d16_hi dst src offset
    ds_write_b16_d16_hi \dst \src \offset
.endm

.macro _ds_store_b32 dst src offset
    ds_write_b32 \dst \src \offset
.endm

.macro _ds_store_b64 dst src offset
    ds_write_b64 \dst \src \offset
.endm

.macro _ds_store_b128 dst src offset
    ds_write_b128 \dst \src \offset
.endm

.macro _ds_load2_b32 dst src offset1 offset2
    ds_read2_b32 \dst \src \offset1 \offset2
.endm

.macro _ds_load2_b64 dst src offset1 offset2
    ds_read2_b64 \dst \src \offset1 \offset2
.endm

.macro _ds_store2_b32 dst src offset1 offset2
    ds_write2_b32 \dst \src \offset1 \offset2
.endm

.macro _ds_store2_b64 dst src offset1 offset2
    ds_write2_b64 \dst \src \offset1 \offset2
.endm


/* buffer memory operation macros */
.macro _buffer_load_b32 dst voffset base soffset offen ioffset md0 md1 md2
    buffer_load_dword \dst \voffset \base \soffset \offen \ioffset \md0 \md1 \md2
.endm

.macro _buffer_load_b64 dst voffset base soffset offen ioffset md0 md1 md2
    buffer_load_dwordx2 \dst \voffset \base \soffset \offen \ioffset \md0 \md1 \md2
.endm

.macro _buffer_load_b96 dst voffset base soffset offen ioffset md0 md1 md2
    buffer_load_dwordx3 \dst \voffset \base \soffset \offen \ioffset \md0 \md1 \md2
.endm

.macro _buffer_load_b128 dst voffset base soffset offen ioffset md0 md1 md2
    buffer_load_dwordx4 \dst \voffset \base \soffset \offen \ioffset \md0 \md1 \md2
.endm

.macro _buffer_load_d16_b16 dst voffset base soffset offen ioffset md0 md1 md2
    buffer_load_short_d16 \dst \voffset \base \soffset \offen \ioffset \md0 \md1 \md2
.endm

.macro _buffer_load_d16_hi_b16 dst voffset base soffset offen ioffset md0 md1 md2
    buffer_load_short_d16_hi \dst \voffset \base \soffset \offen \ioffset \md0 \md1 \md2
.endm

.macro _buffer_load_d16_u8 dst voffset base soffset offen ioffset md0 md1 md2
    buffer_load_ubyte_d16 \dst \voffset \base \soffset \offen \ioffset \md0 \md1 \md2
.endm

.macro _buffer_load_d16_hi_u8 dst voffset base soffset offen ioffset md0 md1 md2
    buffer_load_ubyte_d16_hi \dst \voffset \base \soffset \offen \ioffset \md0 \md1 \md2
.endm

.macro _buffer_load_u16 dst voffset base soffset offen ioffset md0 md1 md2
    buffer_load_ushort \dst \voffset \base \soffset \offen \ioffset \md0 \md1 \md2
.endm

.macro _buffer_load_b32_dtl voffset base soffset offen ioffset md0 md1 md2
    buffer_load_dword \voffset \base \soffset \offen \ioffset \md0 \md1 \md2
.endm

.macro _buffer_load_b64_dtl voffset base soffset offen ioffset md0 md1 md2
    buffer_load_dwordx2 \voffset \base \soffset \offen \ioffset \md0 \md1 \md2
.endm

.macro _buffer_load_b128_dtl voffset base soffset offen ioffset md0 md1 md2
    buffer_load_dwordx4 \voffset \base \soffset \offen \ioffset \md0 \md1 \md2
.endm

.macro _buffer_load_u16_dtl voffset base soffset offen ioffset md0 md1 md2
    buffer_load_ushort \voffset \base \soffset \offen \ioffset \md0 \md1 \md2
.endm

.macro _buffer_store_b32 src voffset base soffset offen ioffset md0 md1 md2
    buffer_store_dword \src \voffset \base \soffset \offen \ioffset \md0 \md1 \md2
.endm

.macro _buffer_store_b64 src voffset base soffset offen ioffset md0 md1 md2
    buffer_store_dwordx2 \src \voffset \base \soffset \offen \ioffset \md0 \md1 \md2
.endm

.macro _buffer_store_b96 src voffset base soffset offen ioffset md0 md1 md2
    buffer_store_dwordx3 \src \voffset \base \soffset \offen \ioffset \md0 \md1 \md2
.endm

.macro _buffer_store_b128 src voffset base soffset offen ioffset md0 md1 md2
    buffer_store_dwordx4 \src \voffset \base \soffset \offen \ioffset \md0 \md1 \md2
.endm

.macro _buffer_store_b16 src voffset base soffset offen ioffset md0 md1 md2
    buffer_store_short \src \voffset \base \soffset \offen \ioffset \md0 \md1 \md2
.endm

.macro _buffer_store_d16_hi_b16 src voffset base soffset offen ioffset md0 md1 md2
    buffer_store_short_d16_hi \src \voffset \base \soffset \offen \ioffset \md0 \md1 \md2
.endm

.macro _buffer_store_b8 src voffset base soffset offen ioffset md0 md1 md2
    buffer_store_byte \src \voffset \base \soffset \offen \ioffset \md0 \md1 \md2
.endm

.macro _buffer_store_d16_hi_b8 src voffset base soffset offen ioffset md0 md1 md2
    buffer_store_byte_d16_hi \src \voffset \base \soffset \offen \ioffset \md0 \md1 \md2
.endm

.macro _buffer_atomic_cmpswap_b32 dst voffset base soffset offen ioffset md0 md1 md2
    buffer_atomic_cmpswap \dst \voffset \base \soffset \offen \ioffset \md0 \md1 \md2
.endm

.macro _buffer_atomic_cmpswap_b64 dst voffset base soffset offen ioffset md0 md1 md2
    buffer_atomic_cmpswap_x2 \dst \voffset \base \soffset \offen \ioffset \md0 \md1 \md2
.endm


/* buffer memory operation macros */
.macro _global_load_b32 dst base src ioffset md0 md1 md2
    global_load_dword \dst \base \src \ioffset \md0 \md1 \md2
.endm

.macro _global_load_b64 dst base src ioffset md0 md1 md2
    global_load_dwordx2 \dst \base \src \ioffset \md0 \md1 \md2
.endm

.macro _global_load_b96 dst base src ioffset md0 md1 md2
    global_load_dwordx3 \dst \base \src \ioffset \md0 \md1 \md2
.endm

.macro _global_load_b128 dst base src ioffset md0 md1 md2
    global_load_dwordx4 \dst \base \src \ioffset \md0 \md1 \md2
.endm

.macro _global_load_d16_b16 dst base src ioffset md0 md1 md2
    global_load_short_d16 \dst \base \src \ioffset \md0 \md1 \md2
.endm

.macro _global_load_d16_hi_b16 dst base src ioffset md0 md1 md2
    global_load_short_d16_hi \dst \base \src \ioffset \md0 \md1 \md2
.endm

.macro _global_load_d16_u8 dst base src ioffset md0 md1 md2
    global_load_ubyte_d16 \dst \base \src \ioffset \md0 \md1 \md2
.endm

.macro _global_load_d16_hi_u8 dst base src ioffset md0 md1 md2
    global_load_ubyte_d16_hi \dst \base \src \ioffset \md0 \md1 \md2
.endm

.macro _global_load_u16 dst base src ioffset md0 md1 md2
    global_load_ushort \dst \base \src \ioffset \md0 \md1 \md2
.endm

.macro _global_store_b32 base src src2 md0 md1 md2
    global_store_dword \base \src \src2 \md0 \md1 \md2
.endm

.macro _global_store_b64 base src src2 md0 md1 md2
    global_store_dwordx2 \base \src \src2 \md0 \md1 \md2
.endm

.macro _global_store_b96 base src src2 md0 md1 md2
    global_store_dwordx3 \base \src \src2 \md0 \md1 \md2
.endm

.macro _global_store_b128 base src src2 md0 md1 md2
    global_store_dwordx4 \base \src \src2 \md0 \md1 \md2
.endm

.macro _global_store_d16_b16 base src src2 md0 md1 md2
    global_store_short \base \src \src2 \md0 \md1 \md2
.endm

.macro _global_store_d16_hi_b16 base src src2 md0 md1 md2
    global_store_short_d16_hi \base \src \src2 \md0 \md1 \md2
.endm

.macro _global_store_d16_u8 base src src2 md0 md1 md2
    global_store_ubyte_d16 \base \src \src2 \md0 \md1 \md2
.endm

.macro _global_store_d16_hi_u8 base src src2 md0 md1 md2
    global_store_ubyte_d16_hi \base \src \src2 \md0 \md1 \md2
.endm

.macro _global_store_u16 base src src2 md0 md1 md2
    global_store_ushort \base \src \src2 \md0 \md1 \md2
.endm

.macro _global_atomic_cmpswap_b32 tmp base data src ioffset md
    global_atomic_cmpswap \tmp \base \data \src \ioffset \md
.endm

.macro _global_atomic_cmpswap_b64 tmp base data src ioffset md
    global_atomic_cmpswap_x2 \tmp \base \data \src \ioffset \md
.endm


/******************************************/
/* Magic div and mod functions            */
/******************************************/
.macro V_MAGIC_DIV dstIdx:req, dividend:req, magicNumber:req, magicShift:req, magicA:req
    v_mul_hi_u32 v[\dstIdx+1], \dividend, \magicNumber
    v_mul_lo_u32 v[\dstIdx+0], \dividend, \magicA
    _v_add_u32 v[\dstIdx+0], v[\dstIdx+0], v[\dstIdx+1]
    v_lshrrev_b32 v[\dstIdx+0], \magicShift, v[\dstIdx+0]
.endm

/******************************************/
/* VGPR Assignments                       */
/******************************************/
/* ValuC range: [0-80), serializedStore enabled */
.set vgprValuC, 0
/* ValuA/B   Xn=PLR buffer idx,  In=InnerUnroll idx */
.set vgprValuA_X0_I0, 80
.set vgprValuA_X1_I0, 84
.set vgprValuA_X2_I0, 88
.set vgprValuA_X3_I0, 92
.set vgprG2LA, 180
.set vgprValuB_X0_I0, 96
.set vgprValuB_X1_I0, 116
.set vgprValuB_X2_I0, 136
.set vgprValuB_X3_I0, 156
.set vgprG2LB, 196
.set vgprLocalWriteAddrA, 176
.set vgprLocalWriteAddrB, 177
.set vgprGlobalReadOffsetA, 178
.set vgprGlobalReadOffsetB, 179
.set vgprLocalReadAddrA, 216
.set vgprLocalReadAddrB, 217
.set vgprSerial, 218
/* Num VGPR=256 */
/* Num AccVGPR=0 */

/******************************************/
/* SGPR Assignments                       */
/******************************************/
.set sgprKernArgAddress, 0 // (2)
.set sgprWorkGroup0, 2 // (1)
.set sgprWorkGroup1, 3 // (1)
.set sgprWorkGroup2, 4 // (1)
.set sgprGSUSumIdx, 5 // (2)
.set sgprLoopCounterL, 7 // (1)
.set sgprOrigLoopCounter, 8 // (1)
.set sgprSrdA, 12 // (4)
.set sgprSrdB, 16 // (4)
.set sgprSrdD, 20 // (4)
.set sgprSrdC, 24 // (4)
.set sgprTensor2dSizeA, 28 // (2)
.set sgprTensor2dSizeB, 30 // (2)
.set sgprAddressD, 32 // (2)
.set sgprAddressC, 34 // (2)
.set sgprAddressA, 36 // (2)
.set sgprAddressB, 38 // (2)
.set sgprAlpha, 40 // (4)
.set sgprBeta, 44 // (4)
.set sgprStridesD, 48 // (2)
.set sgprStridesC, 50 // (2)
.set sgprStridesA, 52 // (2)
.set sgprStridesB, 54 // (2)
.set sgprSizesFree, 56 // (3)
.set sgprSizesSum, 59 // (1)
.set sgprNumWorkGroups0, 60 // (1)
.set sgprNumWorkGroups1, 61 // (1)
.set sgprShadowLimitA, 0 // (2)
.set sgprShadowLimitB, 32 // (2)
.set sgprGlobalReadIncsA, 9 // (1)
.set sgprGlobalReadIncsB, 34 // (1)
.set sgprScalarGlobalReadOffsetA, 35 // (3)
.set sgprScalarGlobalReadOffsetB, 62 // (4)
/* max SGPR=70 */

/* Size Assignments */
.set sgprSizeI, sgprSizesFree+0
.set sgprSizeJ, sgprSizesFree+1
.set sgprSizeK, sgprSizesFree+2
.set sgprSizeL, sgprSizesSum+0

/* Stride Assignments */
.set constStrideD0I, 1
.set sgprStrideD1J, sgprStridesD+0
.set sgprStrideDK, sgprStridesD+1
.set constStrideC0I, 1
.set sgprStrideC1J, sgprStridesC+0
.set sgprStrideCK, sgprStridesC+1
.set constStrideAL, 1
.set sgprStrideA0I, sgprStridesA+0
.set sgprStrideAK, sgprStridesA+1
.set constStrideB1J, 1
.set sgprStrideBL, sgprStridesB+0
.set sgprStrideBK, sgprStridesB+1

.set MT0, 64
.set MT1, 80
.set DepthU, 16
.set GSU, 2
.set BpeA, 16
.set BpeALog2, 4
.set BpeB, 16
.set BpeBLog2, 4
/* Number of elements to shift-left SRD */
.set SrdShiftLeftA, 1
.set SrdShiftLeftB, 1
/* 2GB limit - set offsets to -1 to exceed this and clamp */
.set BufferLimitA, 0xffffffff
.set BufferLimitB, 0xffffffff
.set BufferOOB, 0xfffff000

/******************************************/
/* Bits 127:96 of SRD.                    */
/* hex: 0x00020000                        */
/* dst_sel_x (3b): 0                      */
/* dst_sel_y (3b): 0                      */
/* dst_sel_z (3b): 0                      */
/* dst_sel_w (3b): 0                      */
/* num_format (3b): 0                     */
/* data_format (4b): 4                    */
/* user_vm_enable (1b): 0                 */
/* user_vm_mode (1b): 0                   */
/* index_stride (2b): 0                   */
/* add_tid_enable (1b): 0                 */
/* _unusedA (3b): 0                       */
/* nv (1b): 0                             */
/* _unusedB (2b): 0                       */
/* type (2b): 0                           */
/******************************************/
.set Srd127_96, 0x00020000

/* Global Offset A */
.macro GLOBAL_OFFSET_A vgprAddr:req vgprOffsetL:req vgprOffset0I:req vgprTmp:req
v_mul_lo_u32 v[\vgprTmp+0], s[sgprStrideA0I], v[\vgprOffset0I] // mul d1 lower
_v_add_co_u32 v[\vgprAddr+0], vcc, v[\vgprOffsetL], v[\vgprTmp+0] // accumulate K lower
_v_add_u32 v[\vgprAddr+0], 0x1, v[\vgprAddr+0]     // add prepad for pointer shift
v_lshlrev_b32 v[\vgprAddr+0], 0x4, v[\vgprAddr+0]  // offset *= bytes/element
.endm

/* Global Offset B */
.macro GLOBAL_OFFSET_B vgprAddr:req vgprOffset1J:req vgprOffsetL:req vgprTmp:req
v_mul_lo_u32 v[\vgprTmp+0], s[sgprStrideBL], v[\vgprOffsetL] // mul d1 lower
_v_add_co_u32 v[\vgprAddr+0], vcc, v[\vgprOffset1J], v[\vgprTmp+0] // accumulate K lower
_v_add_u32 v[\vgprAddr+0], 0x1, v[\vgprAddr+0]     // add prepad for pointer shift
v_lshlrev_b32 v[\vgprAddr+0], 0x4, v[\vgprAddr+0]  // offset *= bytes/element
.endm

/******************************************/
/* Dynamic Scalar Divide: vQuotient=vDividend/vDivisor; vRemainder=vDividend%vDivisor; */
/******************************************/
.macro DYNAMIC_VECTOR_DIVIDE vQuotient vRemainder vDividend vDivisor vTmp0 vTmp1 sTmp
v_cvt_f32_u32 v[\vQuotient], v[\vDivisor]          // 
v_rcp_f32 v[\vQuotient], v[\vQuotient]             // 
v_mul_f32 v[\vQuotient], 0x4f800000, v[\vQuotient] // 
v_cvt_u32_f32 v[\vQuotient], v[\vQuotient]         // 
v_mul_lo_u32 v[\vRemainder], v[\vDivisor], v[\vQuotient] // 
v_mul_hi_u32 v[\vTmp0], v[\vDivisor], v[\vQuotient] // 
_v_sub_co_u32 v[\vTmp1], vcc, 0x0, v[\vRemainder]  // 
v_cmp_ne_i32 s[\sTmp:\sTmp+1], 0x0, v[\vTmp0]      // 
v_cndmask_b32 v[\vRemainder], v[\vTmp1], v[\vRemainder], s[\sTmp:\sTmp+1] // 
v_mul_hi_u32 v[\vRemainder], v[\vRemainder], v[\vQuotient] // 
_v_sub_co_u32 v[\vTmp0], vcc, v[\vQuotient], v[\vRemainder] // 
_v_add_co_u32 v[\vQuotient], vcc, v[\vQuotient], v[\vRemainder] // 
v_cndmask_b32 v[\vQuotient], v[\vQuotient], v[\vTmp0], s[\sTmp:\sTmp+1] // 
v_mul_hi_u32 v[\vQuotient], v[\vQuotient], v[\vDividend] // 
v_mul_lo_u32 v[\vRemainder], v[\vQuotient], v[\vDivisor] // 
_v_sub_co_u32 v[\vTmp0], vcc, v[\vDividend], v[\vRemainder] // 
v_cmp_ge_u32 s[\sTmp:\sTmp+1], v[\vDividend], v[\vRemainder] // 
_v_add_co_u32 v[\vRemainder], vcc, 0x1, v[\vQuotient] // 
_v_add_co_u32 v[\vTmp1], vcc, -1, v[\vQuotient]    // 
v_cmp_le_u32 vcc, v[\vDivisor], v[\vTmp0]          // 
s_and_b64 vcc, s[\sTmp:\sTmp+1], vcc               // 
v_cndmask_b32 v[\vQuotient], v[\vQuotient], v[\vRemainder], vcc // 
v_cndmask_b32 v[\vQuotient], v[\vTmp1], v[\vQuotient], s[\sTmp:\sTmp+1] // 
v_cmp_ne_i32 vcc, 0x0, v[\vDivisor]                // 
v_cndmask_b32 v[\vQuotient], -1, v[\vQuotient], vcc // final result
v_mul_lo_u32 v[\vRemainder], v[\vQuotient], v[\vDivisor] // 
_v_sub_co_u32 v[\vRemainder], vcc, v[\vDividend], v[\vRemainder] // final result
.endm



/******************************************/
/* Allocate Resources                     */
/******************************************/

Cijk_Alik_Bjlk_ZB_MT64x80x16_MI16x16x4x1_SN_1LDSB1_APM1_AF0EM1_AF1EM1_AMAS0_ASGT_ASLT065_ASEM1_BL1_BS1_CLR0_DTVA0_DTVB0_ETB_EPS1_ELFLR0_EMLL0_FSSC10_FL0_GLVWA1_GLVWB1_GRCGA1_GRCGB1_GRVWn1_GSU2_GSUAMB_GLS0_IU1_K1_LBSPPA256_LBSPPB0_LPA2_LPB0_LRVW1_MIAV1_MKFGSU256_NTA0_NTB4_NTC0_NTD0_NEPBS2_NLCA1_NLCB5_ONLL1_PK0_PGR2_PLR5_PKA0_SIA3_SS1_SU0_SUM0_SUS0_SPO0_SRVW0_SSO0_SVW1_TSGRA0_TSGRB0_TT1_80_TLDS1_UMLDSA1_UMLDSB0_USFGROn1_VAW1_VSn1_VW1_VWB1_VFLRP0_WSGRA0_WSGRB0_WG64_4_1_WGM1_preloaded: // Kernel start when preloading

/* Load Kernel Args */
_s_load_b512 s[28:43], s[sgprKernArgAddress:sgprKernArgAddress+1], 0x0 // 
_s_load_b512 s[44:59], s[sgprKernArgAddress:sgprKernArgAddress+1], 0x40 // 
_s_load_b64 s[60:61], s[sgprKernArgAddress:sgprKernArgAddress+1], 0x80 // 
s_mov_b32 m0, 0x9800                               // LDS clamp at 38912 bytes
v_mov_b32 v[vgprSerial], v0                        // thread serial id

/******************************************/
/* Local Read Addresses                   */
/******************************************/


/* local read addresses: tile assignments a/b */

/*lr0I*/
v_and_b32 v1, 63, v[vgprSerial]                    // 0. thread id in wave: wtid = tid % wavelength(64)
v_and_b32 v0, 15, v1                               // 1. N offset: nIdx = wtid % MI_N(16)
v_lshlrev_b32 v0, 0x4, v0                          // 1. N offset: nOffset = nIdx * nStride(16)
                                                   // 2. block offset: bnIdx = bnIdx % num1DBlocks(1) is 0. do nothing
                                                   // 4. apply VectorWidth: bnOffset = bnOffset * vw(1) (multiplier is 1, do nothing)
v_lshrrev_b32 v1, 4, v1                            // 5. K offset: kIdx = wtid / (MIN(16) * MIBB(1))
                                                   // 5. K offset: lrKOffset = kIdx * mStride(1) (multiplier is 1, do nothing)
_v_add_u32 v0, v1, v0                              // 6. offset in wave: lrOffset = bnOffset + lrKOffset
v_lshrrev_b32 v2, 6, v[vgprSerial]                 // 7. wave offset in N dimen: wtid = tid / dividedForWaveId(64)
v_and_b32 v1, 3, v2                                // 7. wave offset in M dimen: wtid0 = wtid / num1DWaves(4)
v_lshlrev_b32 v1, 0x8, v1                          // 7. wave offset in M dimen: wOffset = wtid0 * W0Stride(256)
_v_add_u32 v0, v1, v0                              // 8. final local read offset: flrOffset = lrOffset + WOffset
/*lr1J*/
v_and_b32 v2, 63, v[vgprSerial]                    // 0. thread id in wave: wtid = tid % wavelength(64)
v_and_b32 v1, 15, v2                               // 1. N offset: nIdx = wtid % MI_N(16)
                                                   // 1. N offset: nOffset = nIdx * nStride(1) (multiplier is 1, do nothing)
                                                   // 2. block offset: bnIdx = bnIdx % num1DBlocks(1) is 0. do nothing
                                                   // 4. apply VectorWidth: bnOffset = bnOffset * vw(1) (multiplier is 1, do nothing)
v_lshrrev_b32 v2, 4, v2                            // 5. K offset: kIdx = wtid / (MIN(16) * MIBB(1))
s_mov_b32 s9, 0x50                                 // 5. K offset: lrKOffset = kIdx * mStride(80)
v_mul_lo_u32 v2, s9, v2                            // 5. K offset: lrKOffset = kIdx * mStride(80)
_v_add_u32 v1, v2, v1                              // 6. offset in wave: lrOffset = bnOffset + lrKOffset


/* local read addresses: final offsets a */

v_lshlrev_b32 v[vgprLocalReadAddrA], 0x4, v0       // Final Offset: offset = (lro0)*bpe
v_lshrrev_b32 v0, 8, v[vgprLocalReadAddrA]         // Final Offset: padding 2 per block 256
v_lshlrev_b32 v0, 0x5, v0                          // Final Offset: padding 2 per block 256
_v_add_u32 v[vgprLocalReadAddrA], v0, v[vgprLocalReadAddrA] // Final Offset: add padding 2 per block 256


/* local read addresses: final offsets b */

v_lshlrev_b32 v[vgprLocalReadAddrB], 0x4, v1       // Final Offset: offset = (lro1)*bpe


/* local read addresses: declare addresses a */

/* N/A */


/* local read addresses: declare addresses b */

_v_add_co_u32 v[vgprLocalReadAddrB+0], vcc, 0x4800, v[vgprLocalReadAddrB+0] //  += LdsOffsetB (lower)


/* global read addresses: tile offset assignment a */

/* LVCA = 16 */
/* v0 = (local)groA-tile = serial/LVCA (note (wgA*MTA) will be added to SRD) */
/* v1 = groA-unroll = serial%LVCA */
v_lshrrev_b32 v0, 4, v[vgprSerial]                 // v0 = v[vgprSerial] / 16
v_and_b32 v1, 15, v[vgprSerial]                    // v1 = v[vgprSerial] % 16
/* gro-unroll *= glvw */
                                                   // v1 = v1 * 1 (multiplier is 1, do nothing)
v_mov_b32 v2, v1                                   // copy for GlobalSplitU


/* global read addresses: tile offset assignment b */

/* LVCB = 16 */
/* v3 = (local)groB-tile = serial%LVCB (note (wgB*MTB) will be added to SRD) */
/* v4 = groB-unroll = serial/LVCB */
v_lshrrev_b32 v4, 4, v[vgprSerial]                 // v4 = v[vgprSerial] / 16
v_and_b32 v3, 15, v[vgprSerial]                    // v3 = v[vgprSerial] % 16
/* gro-tile *= glvw */
                                                   // v3 = v3 * 1 (multiplier is 1, do nothing)
v_mov_b32 v5, v4                                   // copy for GlobalSplitU


/******************************************/
/* Local Write Addresses                  */
/******************************************/

/* lwaTileAssignmentA = v0 */

/* lwaTileAssignmentB = v3 */

/* lwaUnrollAssignmentA = v2 */

/* lwaUnrollAssignmentB = v5 */


/* local write addresses: first offset a */

v_mul_u32_u24 v[vgprLocalWriteAddrA], 0x10, v0     // lwAL**(DepthU_Compute + PAD)
_v_add_lshl_u32 v[vgprLocalWriteAddrA], v2, v[vgprLocalWriteAddrA], 0x4 // lwFOA = (lwAA + lwAL*(DepthU+PAD))*bpe
v_lshrrev_b32 v6, 8, v[vgprLocalWriteAddrA]        // padding 2 per block 256
v_lshlrev_b32 v6, 0x5, v6                          // padding 2 per block 256
_v_add_u32 v[vgprLocalWriteAddrA], v6, v[vgprLocalWriteAddrA] // add padding 2 per block 256


/* local write addresses: first offset b */

v_mul_u32_u24 v[vgprLocalWriteAddrB], 0x50, v5     // lwBL**(MTB + PAD)
_v_add_lshl_u32 v[vgprLocalWriteAddrB], v3, v[vgprLocalWriteAddrB], 0x4 // lwFOB = (lwBB + lwBL*(MT1J+PAD))*bpe
_v_add_co_u32 v[vgprLocalWriteAddrB], vcc, 0x4800, v[vgprLocalWriteAddrB] // lwFOB = lwB1J + lwBL*MT1J + LDS_OFFSET_B=1152*16


	;; [unrolled: 1-line block ×7, first 2 shown]
s_waitcnt lgkmcnt(0)                               // wait for 136 bytes of kern args
s_mov_b64 s[sgprSrdC+0:sgprSrdC+0+1], s[sgprAddressC+0:sgprAddressC+0+1] // copy addressC
s_mov_b64 s[sgprSrdD+0:sgprSrdD+0+1], s[sgprAddressD+0:sgprAddressD+0+1] // copy addressD
s_sub_u32 s[sgprSrdA+0], s[sgprAddressA+0], 16     // pre-pad to make room for possible pointer shift
s_subb_u32 s[sgprSrdA+1], s[sgprAddressA+1], 0     // pre-pad to make room for possible pointer shift
s_sub_u32 s[sgprSrdB+0], s[sgprAddressB+0], 16     // pre-pad to make room for possible pointer shift
s_subb_u32 s[sgprSrdB+1], s[sgprAddressB+1], 0     // pre-pad to make room for possible pointer shift

.set AddressD, UNDEF
.set AddressC, UNDEF
.set AddressA, UNDEF
.set AddressB, UNDEF

/* Short circuit condition if Alpha == 0, then sumDims=0 */
v_cmp_eq_f64 vcc, s[sgprAlpha:sgprAlpha+1], 0.0    // Alpha.real == 0.0 ?
s_cbranch_vccz label_AlphaNonZero                  // branch if Alpha.real != 0
v_cmp_eq_f64 vcc, s[sgprAlpha+2:sgprAlpha+2+1], 0.0 // Alpha.imag == 0.0 ?
s_cbranch_vccz label_AlphaNonZero                  // branch if Alpha.imag != 0
s_mov_b32 s[sgprSizesSum+0], 0x0                   // Set summation dim=0 if Alpha == 0
label_AlphaNonZero:


	;; [unrolled: 1-line block ×3, first 2 shown]
/******************************************/
/* Begin setupNewTile, isPap=False           */
/******************************************/


/* global read addresses: work-group */

/* graWorkGroup mapping */
// GSU-not-WGMapRR :nwg1 = (size1J + MT1J - 1) / MT1J;
s_mov_b32 s68, s[sgprWorkGroup1]                   // copying for divisor
s_lshr_b32 s[sgprWorkGroup1], s68, 1               // s[sgprWorkGroup1] = s68 / 2
s_and_b32 s[sgprGSUSumIdx], 1, s68                 // s[sgprGSUSumIdx] = s68 % 2


/* global read addresses: unroll assignment a */

/* v1 */


/* global read addresses: unroll assignment b */

/* v4 */


/* global read addresses: other free assignments */

/* s[sgprWorkGroup2] */


/* global read addresses: tile offsets a */



/* global read addresses: tile offsets b */


	;; [unrolled: 1-line block ×3, first 2 shown]
/* global read addresses: unroll offsets a */


	;; [unrolled: 1-line block ×3, first 2 shown]
/* global read addresses: unroll offsets b */


	;; [unrolled: 1-line block ×3, first 2 shown]
/* global read addresses: branch a */


	;; [unrolled: 1-line block ×3, first 2 shown]
/* global read addresses: branch b */


	;; [unrolled: 1-line block ×3, first 2 shown]
/* global read addresses: final offsets a */

GLOBAL_OFFSET_A vgprGlobalReadOffsetA+0,  1,  0, 6 // gROA_0_0_0_0
s_mul_i32 s[sgprScalarGlobalReadOffsetA+0], s[sgprStrideA0I], 16 // compute offset diff (scaled tileDim)
s_lshl_b32 s[sgprScalarGlobalReadOffsetA+0], s[sgprScalarGlobalReadOffsetA+0], 0x4 // scalar offset *= bytes/element
s_mul_i32 s[sgprScalarGlobalReadOffsetA+1], s[sgprStrideA0I], 32 // compute offset diff (scaled tileDim)
s_lshl_b32 s[sgprScalarGlobalReadOffsetA+1], s[sgprScalarGlobalReadOffsetA+1], 0x4 // scalar offset *= bytes/element
	;; [unrolled: 2-line block ×3, first 2 shown]


/* global read addresses: final offsets b */

GLOBAL_OFFSET_B vgprGlobalReadOffsetB+0,  3,  4, 6 // gROB_0_0_0_0
s_mul_i32 s[sgprScalarGlobalReadOffsetB+0], s[sgprStrideBL], 0 // compute offset diff (scaled unrollDim)
s_add_u32 s[sgprScalarGlobalReadOffsetB+0], s[sgprScalarGlobalReadOffsetB+0], 16 // compute offset diff (tileDim)
s_lshl_b32 s[sgprScalarGlobalReadOffsetB+0], s[sgprScalarGlobalReadOffsetB+0], 0x4 // scalar offset *= bytes/element
s_mul_i32 s[sgprScalarGlobalReadOffsetB+1], s[sgprStrideBL], 0 // compute offset diff (scaled unrollDim)
s_add_u32 s[sgprScalarGlobalReadOffsetB+1], s[sgprScalarGlobalReadOffsetB+1], 32 // compute offset diff (tileDim)
s_lshl_b32 s[sgprScalarGlobalReadOffsetB+1], s[sgprScalarGlobalReadOffsetB+1], 0x4 // scalar offset *= bytes/element
	;; [unrolled: 3-line block ×4, first 2 shown]


/* global read addresses: addresses a */

/* max read offset = size[n] * stride[n-1] */
s_mul_hi_u32 s67, s[sgprWorkGroup0], 64            // WorkGroup[01] * MT
s_mul_i32 s66, s[sgprWorkGroup0], 64               // WorkGroup[01] * MT
s_mul_hi_u32 s67, s66, s[sgprStrideA0I]            // tlu=0, scaled tile-offset by stride
s_mul_i32 s66, s66, s[sgprStrideA0I]               // tlu=0, scaled tile-offset by stride
s_mul_hi_u32 s39, 16, s[sgprGSUSumIdx]             // gsuOffset = DepthU*bpe*GSUSumIdx
s_mul_i32 s38, 16, s[sgprGSUSumIdx]                // gsuOffset = DepthU*bpe*GSUSumIdx
s_add_u32 s66, s66, s38                            // accum GsuOffset term to tilestart
s_addc_u32 s67, s67, s39                           // accum GsuOffset term to tilestart
s_sub_u32 s[sgprShadowLimitA+0], s[sgprTensor2dSizeA], s66 // sub tileStart
s_subb_u32 s[sgprShadowLimitA+1], s[sgprTensor2dSizeA+1], s67 // sub tileStart
s_lshl_b64 s[sgprShadowLimitA:sgprShadowLimitA+1], s[sgprShadowLimitA:sgprShadowLimitA+1], 0x4 // Set limit to use bytes
s_add_u32 s[sgprShadowLimitA+0], s[sgprShadowLimitA+0], 16 // extend limit for pre-pad
s_addc_u32 s[sgprShadowLimitA+1], s[sgprShadowLimitA+1], 0 // extend limit for pre-pad
s_cmp_eq_u32 s[sgprShadowLimitA+1], 0              // are we within 2^32?
s_cselect_b32 s[sgprSrdA+2], s[sgprShadowLimitA+0], BufferLimitA // Move shadow to real if we are within 2^32
s_mul_hi_u32 s39, s[sgprStrideAK], s[sgprWorkGroup2] // Stride*WG
s_mul_i32 s38, s[sgprStrideAK], s[sgprWorkGroup2]  // Stride*WG
s_add_u32 s66, s66, s38                            // accum wg term to tilestart
s_addc_u32 s67, s67, s39                           // accum wg term to tilestart
s_lshl_b64 s[66:67], s[66:67], 0x4                 // tileStart *= BPE
s_add_u32 s[sgprSrdA+0], s[sgprSrdA+0], s66        // SRD base = Address+ tileStart0
s_addc_u32 s[sgprSrdA+1], s[sgprSrdA+1], s67       // SRD base = Address+ tileStart1
s_mov_b32 s[sgprSrdA+3], Srd127_96                 // Set bits 127_96 in SRD


/* global read addresses: addresses b */

/* max read offset = size[n] * stride[n-1] */
s_mul_hi_u32 s67, s[sgprWorkGroup1], 80            // WorkGroup[01] * MT
s_mul_i32 s66, s[sgprWorkGroup1], 80               // WorkGroup[01] * MT
s_mul_hi_u32 s39, 16, s[sgprGSUSumIdx]             // gsuOffset = DepthU*bpe*GSUSumIdx
s_mul_i32 s38, 16, s[sgprGSUSumIdx]                // gsuOffset = DepthU*bpe*GSUSumIdx
s_mul_hi_u32 s39, s38, s[sgprStrideBL]             // tlu=1, scaled unroll-offset by stride
s_mul_i32 s38, s38, s[sgprStrideBL]                // tlu=1, scaled unroll-offset by stride
s_add_u32 s66, s66, s38                            // accum GsuOffset term to tilestart
s_addc_u32 s67, s67, s39                           // accum GsuOffset term to tilestart
s_sub_u32 s[sgprShadowLimitB+0], s[sgprTensor2dSizeB], s66 // sub tileStart
s_subb_u32 s[sgprShadowLimitB+1], s[sgprTensor2dSizeB+1], s67 // sub tileStart
s_lshl_b64 s[sgprShadowLimitB:sgprShadowLimitB+1], s[sgprShadowLimitB:sgprShadowLimitB+1], 0x4 // Set limit to use bytes
s_add_u32 s[sgprShadowLimitB+0], s[sgprShadowLimitB+0], 16 // extend limit for pre-pad
s_addc_u32 s[sgprShadowLimitB+1], s[sgprShadowLimitB+1], 0 // extend limit for pre-pad
s_cmp_eq_u32 s[sgprShadowLimitB+1], 0              // are we within 2^32?
s_cselect_b32 s[sgprSrdB+2], s[sgprShadowLimitB+0], BufferLimitB // Move shadow to real if we are within 2^32
s_mul_hi_u32 s39, s[sgprStrideBK], s[sgprWorkGroup2] // Stride*WG
s_mul_i32 s38, s[sgprStrideBK], s[sgprWorkGroup2]  // Stride*WG
s_add_u32 s66, s66, s38                            // accum wg term to tilestart
s_addc_u32 s67, s67, s39                           // accum wg term to tilestart
s_lshl_b64 s[66:67], s[66:67], 0x4                 // tileStart *= BPE
s_add_u32 s[sgprSrdB+0], s[sgprSrdB+0], s66        // SRD base = Address+ tileStart0
s_addc_u32 s[sgprSrdB+1], s[sgprSrdB+1], s67       // SRD base = Address+ tileStart1
s_mov_b32 s[sgprSrdB+3], Srd127_96                 // Set bits 127_96 in SRD


/* global read addresses: increments a */

s_mov_b32 s[sgprGlobalReadIncsA+0], DepthU*BpeA*2  // incrA (unrollIdx)


/* global read addresses: increments b */

s_mul_i32 s[sgprGlobalReadIncsB+0], DepthU*BpeB*2, s[sgprStrideBL] // incrB unrollIdx)

/* declare loop num iterations */


s_lshr_b32 s[sgprLoopCounterL], s[sgprSizesSum+0], 4 // s[sgprLoopCounterL] = s[sgprSizesSum+0] / 16
s_mov_b32 s68, s[sgprLoopCounterL]                 // copy for divide IterGsu
s_lshr_b32 s[sgprLoopCounterL], s68, 1             // s[sgprLoopCounterL] = s68 / 2
s_and_b32 s[sgprGSUSumIdx+1], 1, s68               // s[sgprGSUSumIdx+1] = s68 % 2
s_add_u32 s66, 1, s[sgprLoopCounterL]              // tmp<-numIterMyWg+
s_cmp_lt_u32 s[sgprGSUSumIdx], s[sgprGSUSumIdx+1]  // gsuSumIdx < numIterPerWgRemainder
s_cmov_b32 s[sgprLoopCounterL], s66                // numIterMyWg++ if needed
s_mov_b32 s[sgprOrigLoopCounter], s[sgprLoopCounterL] // copy loop counter

/* local read addresses: init pointers a */


/* localReadInitPointers */

/* local read addresses: init pointers b */


/* localReadInitPointers */


/* prefetch: global -> local */

s_cmp_eq_u32 s[sgprLoopCounterL], 0                // at last iteration?
s_cbranch_scc1 ShadowInitStart_10                  // skip to ShadowInitStart iter b/c numIter==0


_buffer_load_b128 v[vgprG2LA+0:vgprG2LA+0+3], v[vgprGlobalReadOffsetA+0], s[sgprSrdA:sgprSrdA+3], 0, offen offset:0 // G -> Reg 0_0_0_0
_buffer_load_b128 v[vgprG2LA+4:vgprG2LA+4+3], v[vgprGlobalReadOffsetA+0], s[sgprSrdA:sgprSrdA+3], s[sgprScalarGlobalReadOffsetA+0], offen offset:0 // G -> Reg 0_0_1_0
_buffer_load_b128 v[vgprG2LA+8:vgprG2LA+8+3], v[vgprGlobalReadOffsetA+0], s[sgprSrdA:sgprSrdA+3], s[sgprScalarGlobalReadOffsetA+1], offen offset:0 // G -> Reg 0_0_2_0
_buffer_load_b128 v[vgprG2LA+12:vgprG2LA+12+3], v[vgprGlobalReadOffsetA+0], s[sgprSrdA:sgprSrdA+3], s[sgprScalarGlobalReadOffsetA+2], offen offset:0 // G -> Reg 0_0_3_0


_buffer_load_b128 v[vgprG2LB+0:vgprG2LB+0+3], v[vgprGlobalReadOffsetB+0], s[sgprSrdB:sgprSrdB+3], 0, offen offset:0,  nt // G -> Reg 0_0_0_0
_buffer_load_b128 v[vgprG2LB+4:vgprG2LB+4+3], v[vgprGlobalReadOffsetB+0], s[sgprSrdB:sgprSrdB+3], s[sgprScalarGlobalReadOffsetB+0], offen offset:0,  nt // G -> Reg 1_0_0_0
_buffer_load_b128 v[vgprG2LB+8:vgprG2LB+8+3], v[vgprGlobalReadOffsetB+0], s[sgprSrdB:sgprSrdB+3], s[sgprScalarGlobalReadOffsetB+1], offen offset:0,  nt // G -> Reg 2_0_0_0
_buffer_load_b128 v[vgprG2LB+12:vgprG2LB+12+3], v[vgprGlobalReadOffsetB+0], s[sgprSrdB:sgprSrdB+3], s[sgprScalarGlobalReadOffsetB+2], offen offset:0,  nt // G -> Reg 3_0_0_0
_buffer_load_b128 v[vgprG2LB+16:vgprG2LB+16+3], v[vgprGlobalReadOffsetB+0], s[sgprSrdB:sgprSrdB+3], s[sgprScalarGlobalReadOffsetB+3], offen offset:0,  nt // G -> Reg 4_0_0_0


/* global read inc A loopL */
s_add_u32 s[sgprSrdA+0], s[sgprSrdA+0], s[sgprGlobalReadIncsA+0] // gra SRD += inc(lower)
s_addc_u32  s[sgprSrdA+1], s[sgprSrdA+1], 0        // gra SRD += inc(upper)
s_sub_u32 s[sgprShadowLimitA+0], s[sgprShadowLimitA+0], s[sgprGlobalReadIncsA+0] // limit -= inc)
s_subb_u32 s[sgprShadowLimitA+1], s[sgprShadowLimitA+1], 0 // limit -= inc)
s_cmp_eq_u32 s[sgprShadowLimitA+1], 0              // are we within 2^32?
s_cmov_b32 s[sgprSrdA+2], s[sgprShadowLimitA+0]    // Move shadow to real if we are within 2^32

/* global read inc B loopL */
s_add_u32 s[sgprSrdB+0], s[sgprSrdB+0], s[sgprGlobalReadIncsB+0] // gra SRD += inc(lower)
s_addc_u32  s[sgprSrdB+1], s[sgprSrdB+1], 0        // gra SRD += inc(upper)
s_sub_u32 s[sgprShadowLimitB+0], s[sgprShadowLimitB+0], s[sgprGlobalReadIncsB+0] // limit -= inc)
s_subb_u32 s[sgprShadowLimitB+1], s[sgprShadowLimitB+1], 0 // limit -= inc)
s_cmp_eq_u32 s[sgprShadowLimitB+1], 0              // are we within 2^32?
s_cmov_b32 s[sgprSrdB+2], s[sgprShadowLimitB+0]    // Move shadow to real if we are within 2^32


/******************************************/
/* End setupNewTile, isPap=False             */
/******************************************/

ShadowInitStart_10: // 

s_mov_b32 s[sgprSrdD+2], BufferOOB                 // 
s_mov_b32 s[sgprSrdD+3], Srd127_96                 // Set bits 127_96 in post-loop SRD

s_mov_b32 s[sgprSrdC+2], BufferOOB                 // 
s_mov_b32 s[sgprSrdC+3], Srd127_96                 // Set bits 127_96 in post-loop SRD


s_mul_i32 s68, MT1, s[sgprWorkGroup1]              // <- wg1*MT1
s_mul_hi_u32 s67, s68, s[sgprStrideC1J]            // CScale s68 by Stride
s_mul_i32 s66, s68, s[sgprStrideC1J]               // CScale s68 by Stride
s_lshl_b64 s[66:67], s[66:67], 4                   // scale by bpe
s_add_u32 s[sgprSrdC+0], s[sgprSrdC+0], s66        // add lo to SRD
s_addc_u32 s[sgprSrdC+1], s[sgprSrdC+1], s67       // add hi to SRD
s_mul_hi_u32 s67, s68, s[sgprStrideD1J]            // Scale s68 by Stride
s_mul_i32 s66, s68, s[sgprStrideD1J]               // Scale s68 by Stride
s_lshl_b64 s[66:67], s[66:67], 4                   // scale by bpe
s_add_u32 s[sgprSrdD+0], s[sgprSrdD+0], s66        // add lo to SRD
s_addc_u32 s[sgprSrdD+1], s[sgprSrdD+1], s67       // add hi to SRD

s_mul_hi_u32 s67, s[sgprWorkGroup2], s[sgprStrideCK] // CScale s[sgprWorkGroup2] by Stride
s_mul_i32 s66, s[sgprWorkGroup2], s[sgprStrideCK]  // CScale s[sgprWorkGroup2] by Stride
s_lshl_b64 s[66:67], s[66:67], 4                   // scale by bpe
s_add_u32 s[sgprSrdC+0], s[sgprSrdC+0], s66        // add lo to SRD
s_addc_u32 s[sgprSrdC+1], s[sgprSrdC+1], s67       // add hi to SRD
s_mul_hi_u32 s67, s[sgprWorkGroup2], s[sgprStrideDK] // Scale s[sgprWorkGroup2] by Stride
s_mul_i32 s66, s[sgprWorkGroup2], s[sgprStrideDK]  // Scale s[sgprWorkGroup2] by Stride
s_lshl_b64 s[66:67], s[66:67], 4                   // scale by bpe
s_add_u32 s[sgprSrdD+0], s[sgprSrdD+0], s66        // add lo to SRD
s_addc_u32 s[sgprSrdD+1], s[sgprSrdD+1], s67       // add hi to SRD

// GSU Output Buffer offset: Free0 + (Free1-1)*StrideC1J + (Free2-1)*StrideCK * GSUIdx * bpe
s_mul_hi_u32 s11, s[sgprSizesFree+0], s[sgprGSUSumIdx] // Free0
s_mul_i32 s10, s[sgprSizesFree+0], s[sgprGSUSumIdx] // Free0
s_sub_u32 s69, s[sgprSizesFree+1], 1               // Free1
s_mul_i32 s69, s69, s[sgprGSUSumIdx]               // Free1
s_mul_hi_u32 s39, s69, s[sgprStrideC1J]            // Free1
s_mul_i32 s38, s69, s[sgprStrideC1J]               // Free1
s_add_u32 s10, s10, s38                            // Free1
s_addc_u32 s11, s11, s39                           // Free1
s_sub_u32 s69, s[sgprSizesFree+2], 1               // Free2
s_mul_i32 s69, s69, s[sgprGSUSumIdx]               // Free2
s_mul_hi_u32 s39, s69, s[sgprStrideCK]             // Free2
s_mul_i32 s38, s69, s[sgprStrideCK]                // Free2
s_add_u32 s10, s10, s38                            // Free2
s_addc_u32 s11, s11, s39                           // Free2
s_lshl_b64 s[10:11], s[10:11], 4                   // scale by bpe
s_add_u32 s[sgprSrdD+0], s[sgprSrdD+0], s10        // add lo GSU offset to SRD
s_addc_u32 s[sgprSrdD+1], s[sgprSrdD+1], s11       // add hi GSU offset to SRD


/* initC: remove C-tile 0-80 from pool */

/* initC: remove AB-tile 80-176 from pool */
v_mov_b64 v[vgprValuC+0:vgprValuC+0+1], 0x0        // initC
v_mov_b64 v[vgprValuC+2:vgprValuC+2+1], 0x0        // initC
v_mov_b64 v[vgprValuC+4:vgprValuC+4+1], 0x0        // initC
v_mov_b64 v[vgprValuC+6:vgprValuC+6+1], 0x0        // initC
v_mov_b64 v[vgprValuC+8:vgprValuC+8+1], 0x0        // initC
v_mov_b64 v[vgprValuC+10:vgprValuC+10+1], 0x0      // initC
v_mov_b64 v[vgprValuC+12:vgprValuC+12+1], 0x0      // initC
	;; [unrolled: 1-line block ×35, first 2 shown]

s_cmp_eq_u32 s[sgprLoopCounterL], 0                // at last iteration?

/* after InitC, skip to end of prefetch last iter if numIter==0 */
s_cbranch_scc0 label_NoBranch_11                   // Only branch on scc1
s_getpc_B64 s[66:67]                               // addr of next instr
s_add_i32 s68, PrefetchGlobalLastIterEnd_5, 0x4    // target branch offset
s_add_u32 s66, s66, s68                            // add target branch offset
s_addc_u32 s67, s67, 0                             // add high and carry
s_setpc_b64 s[66:67]                               // branch to PrefetchGlobalLastIterEnd_5
label_NoBranch_11:

s_waitcnt vmcnt(0)                                 // lgkmcnt=-1 vmcnt=0 8wait for global read


/* local write a */
_ds_store_b128 v[vgprLocalWriteAddrA], v[vgprG2LA+0:vgprG2LA+0+3] offset:0 // lwoA_0_0_0_0 = (0*LSCA)*(MT0I+PAD) + (0*LSPA) = 0
_ds_store_b128 v[vgprLocalWriteAddrA], v[vgprG2LA+4:vgprG2LA+4+3] offset:4608 // lwoA_0_0_1_0 = (0*LSCA)*(MT0I+PAD) + (1*LSPA) = 4608
_ds_store_b128 v[vgprLocalWriteAddrA], v[vgprG2LA+8:vgprG2LA+8+3] offset:9216 // lwoA_0_0_2_0 = (0*LSCA)*(MT0I+PAD) + (2*LSPA) = 9216
_ds_store_b128 v[vgprLocalWriteAddrA], v[vgprG2LA+12:vgprG2LA+12+3] offset:13824 // lwoA_0_0_3_0 = (0*LSCA)*(MT0I+PAD) + (3*LSPA) = 13824

/* local write b */
_ds_store_b128 v[vgprLocalWriteAddrB], v[vgprG2LB+0:vgprG2LB+0+3] offset:0 // lwoB_0_0_0_0 = (0*LSCB) + (0*LSPB)(*MT1J+PAD) = 0
_ds_store_b128 v[vgprLocalWriteAddrB], v[vgprG2LB+4:vgprG2LB+4+3] offset:256 // lwoB_1_0_0_0 = (1*LSCB) + (0*LSPB)(*MT1J+PAD) = 256
_ds_store_b128 v[vgprLocalWriteAddrB], v[vgprG2LB+8:vgprG2LB+8+3] offset:512 // lwoB_2_0_0_0 = (2*LSCB) + (0*LSPB)(*MT1J+PAD) = 512
_ds_store_b128 v[vgprLocalWriteAddrB], v[vgprG2LB+12:vgprG2LB+12+3] offset:768 // lwoB_3_0_0_0 = (3*LSCB) + (0*LSPB)(*MT1J+PAD) = 768
_ds_store_b128 v[vgprLocalWriteAddrB], v[vgprG2LB+16:vgprG2LB+16+3] offset:1024 // lwoB_4_0_0_0 = (4*LSCB) + (0*LSPB)(*MT1J+PAD) = 1024


/* local write swap a */


	;; [unrolled: 1-line block ×3, first 2 shown]
/* local write swap b */


	;; [unrolled: 1-line block ×4, first 2 shown]
s_cmp_eq_u32 s[sgprLoopCounterL] 0x1               // PGR=2 but only 1 loop
s_cbranch_scc1 label_0012                          // PGR=2 but only 1 loop


_buffer_load_b128 v[vgprG2LA+0:vgprG2LA+0+3], v[vgprGlobalReadOffsetA+0], s[sgprSrdA:sgprSrdA+3], 0, offen offset:0 // G -> Reg 0_0_0_0
_buffer_load_b128 v[vgprG2LA+4:vgprG2LA+4+3], v[vgprGlobalReadOffsetA+0], s[sgprSrdA:sgprSrdA+3], s[sgprScalarGlobalReadOffsetA+0], offen offset:0 // G -> Reg 0_0_1_0
_buffer_load_b128 v[vgprG2LA+8:vgprG2LA+8+3], v[vgprGlobalReadOffsetA+0], s[sgprSrdA:sgprSrdA+3], s[sgprScalarGlobalReadOffsetA+1], offen offset:0 // G -> Reg 0_0_2_0
_buffer_load_b128 v[vgprG2LA+12:vgprG2LA+12+3], v[vgprGlobalReadOffsetA+0], s[sgprSrdA:sgprSrdA+3], s[sgprScalarGlobalReadOffsetA+2], offen offset:0 // G -> Reg 0_0_3_0


_buffer_load_b128 v[vgprG2LB+0:vgprG2LB+0+3], v[vgprGlobalReadOffsetB+0], s[sgprSrdB:sgprSrdB+3], 0, offen offset:0,  nt // G -> Reg 0_0_0_0
_buffer_load_b128 v[vgprG2LB+4:vgprG2LB+4+3], v[vgprGlobalReadOffsetB+0], s[sgprSrdB:sgprSrdB+3], s[sgprScalarGlobalReadOffsetB+0], offen offset:0,  nt // G -> Reg 1_0_0_0
_buffer_load_b128 v[vgprG2LB+8:vgprG2LB+8+3], v[vgprGlobalReadOffsetB+0], s[sgprSrdB:sgprSrdB+3], s[sgprScalarGlobalReadOffsetB+1], offen offset:0,  nt // G -> Reg 2_0_0_0
_buffer_load_b128 v[vgprG2LB+12:vgprG2LB+12+3], v[vgprGlobalReadOffsetB+0], s[sgprSrdB:sgprSrdB+3], s[sgprScalarGlobalReadOffsetB+2], offen offset:0,  nt // G -> Reg 3_0_0_0
_buffer_load_b128 v[vgprG2LB+16:vgprG2LB+16+3], v[vgprGlobalReadOffsetB+0], s[sgprSrdB:sgprSrdB+3], s[sgprScalarGlobalReadOffsetB+3], offen offset:0,  nt // G -> Reg 4_0_0_0

label_0012:                                        // 

s_waitcnt lgkmcnt(0)                               // lgkmcnt=0 vmcnt=-10prefetch wait for local write

// Skip force waitcnt0
s_barrier //


/* local read prefetch a */

_ds_load_b128 v[vgprValuA_X0_I0+0:vgprValuA_X0_I0+0+3], v[vgprLocalReadAddrA] offset:0 // L -> Reg lro=0 swapByteOffset=0 ti=64 vIdx=0 rIdx=0 oIdx=0 buffer=0 iui=0


/* local read prefetch b */

_ds_load_b128 v[vgprValuB_X0_I0+0:vgprValuB_X0_I0+0+3], v[vgprLocalReadAddrB] offset:0 // L -> Reg lro=0 swapByteOffset=0 ti=16 vIdx=0 rIdx=0 oIdx=0 buffer=0 iui=0
_ds_load_b128 v[vgprValuB_X0_I0+4:vgprValuB_X0_I0+4+3], v[vgprLocalReadAddrB] offset:256 // L -> Reg lro=0 swapByteOffset=0 ti=16 vIdx=1 rIdx=0 oIdx=0 buffer=0 iui=0
	;; [unrolled: 1-line block ×5, first 2 shown]


/* local read inc a */

/* N/A, lro->4 */
/* self.localReadDoCntA 1 self.localReadDoCntB 1 */


/* local read inc b */

/* N/A, lro->320 */
/* self.localReadDoCntA 1 self.localReadDoCntB 1 */


	;; [unrolled: 1-line block ×3, first 2 shown]
/******************************************/
/* Unrolled Loop(s) - Begin               */
/******************************************/

openLoopL_13:
s_cmp_eq_u32 s[sgprLoopCounterL], 0x1              // LoopCounterL < EndCounter
s_cbranch_scc1 label_0014                          // PGR=2 but only 1 loop, toPGR1
s_cmp_le_u32 s[sgprLoopCounterL], 0x2              // LoopCounterL < EndCounter
s_cbranch_scc1 LoopEndL_evenexit_4                 // do not enter LoopL
LoopBeginL_1:


/******************************************/
/* Unrolled Loop 1/2 - Begin              */
/******************************************/

label_0015: // LoopCopy1 


/* Begin Each Unroll: Check VGPR.checkin for INT8 LW */


	;; [unrolled: 1-line block ×3, first 2 shown]
/* iter 0 */

/*  grEndMfmaIndex:4, lwStartMfmaIndex:25, lwEndMfmaIndex:67  */
/*  numMfmaForLR:10, barrierMfmaIndex:69, LocalWritePerMfma:0.195 */
/*  mfmaIndex:0  */
s_waitcnt lgkmcnt(0)                               // lgkmcnt=0 vmcnt=-1wait for prior local read local write old=0, new=0 newLW=0 newLR=0
v_add_f64 v[220:221], -v[vgprValuA_X0_I0+0+0+0+2:vgprValuA_X0_I0+0+0+0+2+1], 0 // Ai=-Ai
v_mfma_f64_16x16x4_f64 v[0+0:7+0], v[vgprValuB_X0_I0+0+0+0:vgprValuB_X0_I0+0+0+0+1], v[vgprValuA_X0_I0+0+0+0:vgprValuA_X0_I0+0+0+0+1], v[0:7]
 // Cr += Ar*Br
/*  mfmaIndex:1  */
_ds_load_b128 v[vgprValuA_X1_I0+0:vgprValuA_X1_I0+0+3], v[vgprLocalReadAddrA] offset:64 // L -> Reg lro=4 swapByteOffset=0 ti=64 vIdx=0 rIdx=0 oIdx=0 buffer=1 iui=0

/* global read inc A loopL */
s_add_u32 s[sgprSrdA+0], s[sgprSrdA+0], s[sgprGlobalReadIncsA+0] // gra SRD += inc(lower)
s_addc_u32  s[sgprSrdA+1], s[sgprSrdA+1], 0        // gra SRD += inc(upper)
s_sub_u32 s[sgprShadowLimitA+0], s[sgprShadowLimitA+0], s[sgprGlobalReadIncsA+0] // limit -= inc)
v_mfma_f64_16x16x4_f64 v[40+0:47+0], v[vgprValuB_X0_I0+0+0+0:vgprValuB_X0_I0+0+0+0+1], v[vgprValuA_X0_I0+0+0+0+2:vgprValuA_X0_I0+0+0+0+2+1], v[40:47]
 // Ci += Ai*Br
/*  mfmaIndex:2  */
_ds_load_b128 v[vgprValuB_X1_I0+0:vgprValuB_X1_I0+0+3], v[vgprLocalReadAddrB] offset:5120 // L -> Reg lro=320 swapByteOffset=0 ti=16 vIdx=0 rIdx=0 oIdx=0 buffer=1 iui=0
s_subb_u32 s[sgprShadowLimitA+1], s[sgprShadowLimitA+1], 0 // limit -= inc)
s_cmp_eq_u32 s[sgprShadowLimitA+1], 0              // are we within 2^32?
s_cmov_b32 s[sgprSrdA+2], s[sgprShadowLimitA+0]    // Move shadow to real if we are within 2^32
v_mfma_f64_16x16x4_f64 v[0+0:7+0], v[vgprValuB_X0_I0+0+0+0+2:vgprValuB_X0_I0+0+0+0+2+1], v[220:221], v[0:7]
 // Cr += -Ai*Bi
/*  mfmaIndex:3  */
_ds_load_b128 v[vgprValuB_X1_I0+4:vgprValuB_X1_I0+4+3], v[vgprLocalReadAddrB] offset:5376 // L -> Reg lro=320 swapByteOffset=0 ti=16 vIdx=1 rIdx=0 oIdx=0 buffer=1 iui=0

/* global read inc B loopL */
s_add_u32 s[sgprSrdB+0], s[sgprSrdB+0], s[sgprGlobalReadIncsB+0] // gra SRD += inc(lower)
s_addc_u32  s[sgprSrdB+1], s[sgprSrdB+1], 0        // gra SRD += inc(upper)
s_sub_u32 s[sgprShadowLimitB+0], s[sgprShadowLimitB+0], s[sgprGlobalReadIncsB+0] // limit -= inc)
v_mfma_f64_16x16x4_f64 v[40+0:47+0], v[vgprValuB_X0_I0+0+0+0+2:vgprValuB_X0_I0+0+0+0+2+1], v[vgprValuA_X0_I0+0+0+0:vgprValuA_X0_I0+0+0+0+1], v[40:47]
 // Ci += Ar*Bi
/*  mfmaIndex:4  */
_ds_load_b128 v[vgprValuB_X1_I0+8:vgprValuB_X1_I0+8+3], v[vgprLocalReadAddrB] offset:5632 // L -> Reg lro=320 swapByteOffset=0 ti=16 vIdx=2 rIdx=0 oIdx=0 buffer=1 iui=0
s_subb_u32 s[sgprShadowLimitB+1], s[sgprShadowLimitB+1], 0 // limit -= inc)
s_cmp_eq_u32 s[sgprShadowLimitB+1], 0              // are we within 2^32?
s_cmov_b32 s[sgprSrdB+2], s[sgprShadowLimitB+0]    // Move shadow to real if we are within 2^32
v_mfma_f64_16x16x4_f64 v[8+0:15+0], v[vgprValuB_X0_I0+4+0+0:vgprValuB_X0_I0+4+0+0+1], v[vgprValuA_X0_I0+0+0+0:vgprValuA_X0_I0+0+0+0+1], v[8:15]
 // Cr += Ar*Br
/*  mfmaIndex:5  */
_ds_load_b128 v[vgprValuB_X1_I0+12:vgprValuB_X1_I0+12+3], v[vgprLocalReadAddrB] offset:5888 // L -> Reg lro=320 swapByteOffset=0 ti=16 vIdx=3 rIdx=0 oIdx=0 buffer=1 iui=0
v_mfma_f64_16x16x4_f64 v[48+0:55+0], v[vgprValuB_X0_I0+4+0+0:vgprValuB_X0_I0+4+0+0+1], v[vgprValuA_X0_I0+0+0+0+2:vgprValuA_X0_I0+0+0+0+2+1], v[48:55]
 // Ci += Ai*Br
/*  mfmaIndex:6  */
_ds_load_b128 v[vgprValuB_X1_I0+16:vgprValuB_X1_I0+16+3], v[vgprLocalReadAddrB] offset:6144 // L -> Reg lro=320 swapByteOffset=0 ti=16 vIdx=4 rIdx=0 oIdx=0 buffer=1 iui=0
/* localReadsVacancy: latencyLeft 1 */
v_mfma_f64_16x16x4_f64 v[8+0:15+0], v[vgprValuB_X0_I0+4+0+0+2:vgprValuB_X0_I0+4+0+0+2+1], v[220:221], v[8:15]
 // Cr += -Ai*Bi
/*  mfmaIndex:7  */
/* localReadsVacancy: latencyLeft 5 */
_ds_load_b128 v[vgprValuA_X2_I0+0:vgprValuA_X2_I0+0+3], v[vgprLocalReadAddrA] offset:128 // L -> Reg lro=8 swapByteOffset=0 ti=64 vIdx=0 rIdx=0 oIdx=0 buffer=2 iui=0
v_mfma_f64_16x16x4_f64 v[48+0:55+0], v[vgprValuB_X0_I0+4+0+0+2:vgprValuB_X0_I0+4+0+0+2+1], v[vgprValuA_X0_I0+0+0+0:vgprValuA_X0_I0+0+0+0+1], v[48:55]
 // Ci += Ar*Bi
/*  mfmaIndex:8  */
/* localReadsVacancy: latencyLeft 5 */
_ds_load_b128 v[vgprValuB_X2_I0+0:vgprValuB_X2_I0+0+3], v[vgprLocalReadAddrB] offset:10240 // L -> Reg lro=640 swapByteOffset=0 ti=16 vIdx=0 rIdx=0 oIdx=0 buffer=2 iui=0
v_mfma_f64_16x16x4_f64 v[16+0:23+0], v[vgprValuB_X0_I0+8+0+0:vgprValuB_X0_I0+8+0+0+1], v[vgprValuA_X0_I0+0+0+0:vgprValuA_X0_I0+0+0+0+1], v[16:23]
 // Cr += Ar*Br
/*  mfmaIndex:9  */
/* localReadsVacancy: latencyLeft 5 */
_ds_load_b128 v[vgprValuB_X2_I0+4:vgprValuB_X2_I0+4+3], v[vgprLocalReadAddrB] offset:10496 // L -> Reg lro=640 swapByteOffset=0 ti=16 vIdx=1 rIdx=0 oIdx=0 buffer=2 iui=0
v_mfma_f64_16x16x4_f64 v[56+0:63+0], v[vgprValuB_X0_I0+8+0+0:vgprValuB_X0_I0+8+0+0+1], v[vgprValuA_X0_I0+0+0+0+2:vgprValuA_X0_I0+0+0+0+2+1], v[56:63]
 // Ci += Ai*Br
/*  mfmaIndex:10  */
/* localReadsVacancy: latencyLeft 5 */
_ds_load_b128 v[vgprValuB_X2_I0+8:vgprValuB_X2_I0+8+3], v[vgprLocalReadAddrB] offset:10752 // L -> Reg lro=640 swapByteOffset=0 ti=16 vIdx=2 rIdx=0 oIdx=0 buffer=2 iui=0
v_mfma_f64_16x16x4_f64 v[16+0:23+0], v[vgprValuB_X0_I0+8+0+0+2:vgprValuB_X0_I0+8+0+0+2+1], v[220:221], v[16:23]
 // Cr += -Ai*Bi
/*  mfmaIndex:11  */
/* localReadsVacancy: latencyLeft 5 */
_ds_load_b128 v[vgprValuB_X2_I0+12:vgprValuB_X2_I0+12+3], v[vgprLocalReadAddrB] offset:11008 // L -> Reg lro=640 swapByteOffset=0 ti=16 vIdx=3 rIdx=0 oIdx=0 buffer=2 iui=0
v_mfma_f64_16x16x4_f64 v[56+0:63+0], v[vgprValuB_X0_I0+8+0+0+2:vgprValuB_X0_I0+8+0+0+2+1], v[vgprValuA_X0_I0+0+0+0:vgprValuA_X0_I0+0+0+0+1], v[56:63]
 // Ci += Ar*Bi
/*  mfmaIndex:12  */
/* localReadsVacancy: latencyLeft 5 */
_ds_load_b128 v[vgprValuB_X2_I0+16:vgprValuB_X2_I0+16+3], v[vgprLocalReadAddrB] offset:11264 // L -> Reg lro=640 swapByteOffset=0 ti=16 vIdx=4 rIdx=0 oIdx=0 buffer=2 iui=0
v_mfma_f64_16x16x4_f64 v[24+0:31+0], v[vgprValuB_X0_I0+12+0+0:vgprValuB_X0_I0+12+0+0+1], v[vgprValuA_X0_I0+0+0+0:vgprValuA_X0_I0+0+0+0+1], v[24:31]
 // Cr += Ar*Br
/*  mfmaIndex:13  */
/* localReadsVacancy: latencyLeft 5 */
_ds_load_b128 v[vgprValuA_X3_I0+0:vgprValuA_X3_I0+0+3], v[vgprLocalReadAddrA] offset:192 // L -> Reg lro=12 swapByteOffset=0 ti=64 vIdx=0 rIdx=0 oIdx=0 buffer=3 iui=0
v_mfma_f64_16x16x4_f64 v[64+0:71+0], v[vgprValuB_X0_I0+12+0+0:vgprValuB_X0_I0+12+0+0+1], v[vgprValuA_X0_I0+0+0+0+2:vgprValuA_X0_I0+0+0+0+2+1], v[64:71]
 // Ci += Ai*Br
/*  mfmaIndex:14  */
/* localReadsVacancy: latencyLeft 5 */
_ds_load_b128 v[vgprValuB_X3_I0+0:vgprValuB_X3_I0+0+3], v[vgprLocalReadAddrB] offset:15360 // L -> Reg lro=960 swapByteOffset=0 ti=16 vIdx=0 rIdx=0 oIdx=0 buffer=3 iui=0
v_mfma_f64_16x16x4_f64 v[24+0:31+0], v[vgprValuB_X0_I0+12+0+0+2:vgprValuB_X0_I0+12+0+0+2+1], v[220:221], v[24:31]
 // Cr += -Ai*Bi
/*  mfmaIndex:15  */
/* localReadsVacancy: latencyLeft 5 */
_ds_load_b128 v[vgprValuB_X3_I0+4:vgprValuB_X3_I0+4+3], v[vgprLocalReadAddrB] offset:15616 // L -> Reg lro=960 swapByteOffset=0 ti=16 vIdx=1 rIdx=0 oIdx=0 buffer=3 iui=0
v_mfma_f64_16x16x4_f64 v[64+0:71+0], v[vgprValuB_X0_I0+12+0+0+2:vgprValuB_X0_I0+12+0+0+2+1], v[vgprValuA_X0_I0+0+0+0:vgprValuA_X0_I0+0+0+0+1], v[64:71]
 // Ci += Ar*Bi
/*  mfmaIndex:16  */
/* localReadsVacancy: latencyLeft 5 */
_ds_load_b128 v[vgprValuB_X3_I0+8:vgprValuB_X3_I0+8+3], v[vgprLocalReadAddrB] offset:15872 // L -> Reg lro=960 swapByteOffset=0 ti=16 vIdx=2 rIdx=0 oIdx=0 buffer=3 iui=0
v_mfma_f64_16x16x4_f64 v[32+0:39+0], v[vgprValuB_X0_I0+16+0+0:vgprValuB_X0_I0+16+0+0+1], v[vgprValuA_X0_I0+0+0+0:vgprValuA_X0_I0+0+0+0+1], v[32:39]
 // Cr += Ar*Br
/*  mfmaIndex:17  */
/* localReadsVacancy: latencyLeft 5 */
_ds_load_b128 v[vgprValuB_X3_I0+12:vgprValuB_X3_I0+12+3], v[vgprLocalReadAddrB] offset:16128 // L -> Reg lro=960 swapByteOffset=0 ti=16 vIdx=3 rIdx=0 oIdx=0 buffer=3 iui=0
v_mfma_f64_16x16x4_f64 v[72+0:79+0], v[vgprValuB_X0_I0+16+0+0:vgprValuB_X0_I0+16+0+0+1], v[vgprValuA_X0_I0+0+0+0+2:vgprValuA_X0_I0+0+0+0+2+1], v[72:79]
 // Ci += Ai*Br
/*  mfmaIndex:18  */
/* localReadsVacancy: latencyLeft 5 */
_ds_load_b128 v[vgprValuB_X3_I0+16:vgprValuB_X3_I0+16+3], v[vgprLocalReadAddrB] offset:16384 // L -> Reg lro=960 swapByteOffset=0 ti=16 vIdx=4 rIdx=0 oIdx=0 buffer=3 iui=0
v_mfma_f64_16x16x4_f64 v[32+0:39+0], v[vgprValuB_X0_I0+16+0+0+2:vgprValuB_X0_I0+16+0+0+2+1], v[220:221], v[32:39]
 // Cr += -Ai*Bi
/*  mfmaIndex:19  */
/* localReadsVacancy: latencyLeft 5 */
v_mfma_f64_16x16x4_f64 v[72+0:79+0], v[vgprValuB_X0_I0+16+0+0+2:vgprValuB_X0_I0+16+0+0+2+1], v[vgprValuA_X0_I0+0+0+0:vgprValuA_X0_I0+0+0+0+1], v[72:79]
 // Ci += Ar*Bi
/* numPrefetchIter=0 */
/* dataAtIterA=-1 numReadsIterA=1 skipReadsIterA=1 readsPerIterA=1 */
/* dataAtIterB=-1 numReadsIterB=1 skipReadsIterB=1 readsPerIterB=5 */


/* iter 1 */

/*  grEndMfmaIndex:4, lwStartMfmaIndex:25, lwEndMfmaIndex:67  */
/*  numMfmaForLR:10, barrierMfmaIndex:69, LocalWritePerMfma:0.195 */
/*  mfmaIndex:20  */
/* localReadsVacancy: latencyLeft 5 */
s_waitcnt lgkmcnt(12)                              // lgkmcnt=0 vmcnt=-1wait for prior local read local write old=6, new=6 newLW=0 newLR=0
v_add_f64 v[220:221], -v[vgprValuA_X1_I0+0+0+0+2:vgprValuA_X1_I0+0+0+0+2+1], 0 // Ai=-Ai
v_mfma_f64_16x16x4_f64 v[0+0:7+0], v[vgprValuB_X1_I0+0+0+0:vgprValuB_X1_I0+0+0+0+1], v[vgprValuA_X1_I0+0+0+0:vgprValuA_X1_I0+0+0+0+1], v[0:7]
 // Cr += Ar*Br
/*  mfmaIndex:21  */
/* localReadsVacancy: latencyLeft 5 */
v_mfma_f64_16x16x4_f64 v[40+0:47+0], v[vgprValuB_X1_I0+0+0+0:vgprValuB_X1_I0+0+0+0+1], v[vgprValuA_X1_I0+0+0+0+2:vgprValuA_X1_I0+0+0+0+2+1], v[40:47]
 // Ci += Ai*Br
/*  mfmaIndex:22  */
/* localReadsVacancy: latencyLeft 5 */
v_mfma_f64_16x16x4_f64 v[0+0:7+0], v[vgprValuB_X1_I0+0+0+0+2:vgprValuB_X1_I0+0+0+0+2+1], v[220:221], v[0:7]
 // Cr += -Ai*Bi
/*  mfmaIndex:23  */
/* localReadsVacancy: latencyLeft 5 */
v_mfma_f64_16x16x4_f64 v[40+0:47+0], v[vgprValuB_X1_I0+0+0+0+2:vgprValuB_X1_I0+0+0+0+2+1], v[vgprValuA_X1_I0+0+0+0:vgprValuA_X1_I0+0+0+0+1], v[40:47]
 // Ci += Ar*Bi
/*  mfmaIndex:24  */
/* localReadsVacancy: latencyLeft 5 */
/* 1 LDS buffer: read-sync-write */
s_waitcnt lgkmcnt(0)                               // 
s_barrier                                          // 
v_mfma_f64_16x16x4_f64 v[8+0:15+0], v[vgprValuB_X1_I0+4+0+0:vgprValuB_X1_I0+4+0+0+1], v[vgprValuA_X1_I0+0+0+0:vgprValuA_X1_I0+0+0+0+1], v[8:15]
 // Cr += Ar*Br
/*  mfmaIndex:25  */
/* sched write - iter 1 writesPerItem=1 */
s_waitcnt vmcnt(0)                                 // lgkmcnt=-1 vmcnt=0wait for global read before writing to local
_ds_store_b128 v[vgprLocalWriteAddrA], v[vgprG2LA+0:vgprG2LA+0+3] offset:0 // lwoA_0_0_0_0 = (0*LSCA)*(MT0I+PAD) + (0*LSPA) = 0
v_mfma_f64_16x16x4_f64 v[48+0:55+0], v[vgprValuB_X1_I0+4+0+0:vgprValuB_X1_I0+4+0+0+1], v[vgprValuA_X1_I0+0+0+0+2:vgprValuA_X1_I0+0+0+0+2+1], v[48:55]
 // Ci += Ai*Br
/*  mfmaIndex:26  */
_buffer_load_b128 v[vgprG2LA+0:vgprG2LA+0+3], v[vgprGlobalReadOffsetA+0], s[sgprSrdA:sgprSrdA+3], 0, offen offset:0 // G -> Reg 0_0_0_0
v_mfma_f64_16x16x4_f64 v[8+0:15+0], v[vgprValuB_X1_I0+4+0+0+2:vgprValuB_X1_I0+4+0+0+2+1], v[220:221], v[8:15]
 // Cr += -Ai*Bi
/*  mfmaIndex:27  */
v_mfma_f64_16x16x4_f64 v[48+0:55+0], v[vgprValuB_X1_I0+4+0+0+2:vgprValuB_X1_I0+4+0+0+2+1], v[vgprValuA_X1_I0+0+0+0:vgprValuA_X1_I0+0+0+0+1], v[48:55]
 // Ci += Ar*Bi
/*  mfmaIndex:28  */
v_mfma_f64_16x16x4_f64 v[16+0:23+0], v[vgprValuB_X1_I0+8+0+0:vgprValuB_X1_I0+8+0+0+1], v[vgprValuA_X1_I0+0+0+0:vgprValuA_X1_I0+0+0+0+1], v[16:23]
 // Cr += Ar*Br
/*  mfmaIndex:29  */
v_mfma_f64_16x16x4_f64 v[56+0:63+0], v[vgprValuB_X1_I0+8+0+0:vgprValuB_X1_I0+8+0+0+1], v[vgprValuA_X1_I0+0+0+0+2:vgprValuA_X1_I0+0+0+0+2+1], v[56:63]
 // Ci += Ai*Br
/*  mfmaIndex:30  */
/* sched write - iter 1 writesPerItem=1 */
s_waitcnt vmcnt(0)                                 // lgkmcnt=-1 vmcnt=0wait for global read before writing to local
_ds_store_b128 v[vgprLocalWriteAddrA], v[vgprG2LA+4:vgprG2LA+4+3] offset:4608 // lwoA_0_0_1_0 = (0*LSCA)*(MT0I+PAD) + (1*LSPA) = 4608
v_mfma_f64_16x16x4_f64 v[16+0:23+0], v[vgprValuB_X1_I0+8+0+0+2:vgprValuB_X1_I0+8+0+0+2+1], v[220:221], v[16:23]
 // Cr += -Ai*Bi
/*  mfmaIndex:31  */
_buffer_load_b128 v[vgprG2LA+4:vgprG2LA+4+3], v[vgprGlobalReadOffsetA+0], s[sgprSrdA:sgprSrdA+3], s[sgprScalarGlobalReadOffsetA+0], offen offset:0 // G -> Reg 0_0_1_0
v_mfma_f64_16x16x4_f64 v[56+0:63+0], v[vgprValuB_X1_I0+8+0+0+2:vgprValuB_X1_I0+8+0+0+2+1], v[vgprValuA_X1_I0+0+0+0:vgprValuA_X1_I0+0+0+0+1], v[56:63]
 // Ci += Ar*Bi
/*  mfmaIndex:32  */
v_mfma_f64_16x16x4_f64 v[24+0:31+0], v[vgprValuB_X1_I0+12+0+0:vgprValuB_X1_I0+12+0+0+1], v[vgprValuA_X1_I0+0+0+0:vgprValuA_X1_I0+0+0+0+1], v[24:31]
 // Cr += Ar*Br
/*  mfmaIndex:33  */
v_mfma_f64_16x16x4_f64 v[64+0:71+0], v[vgprValuB_X1_I0+12+0+0:vgprValuB_X1_I0+12+0+0+1], v[vgprValuA_X1_I0+0+0+0+2:vgprValuA_X1_I0+0+0+0+2+1], v[64:71]
 // Ci += Ai*Br
/*  mfmaIndex:34  */
v_mfma_f64_16x16x4_f64 v[24+0:31+0], v[vgprValuB_X1_I0+12+0+0+2:vgprValuB_X1_I0+12+0+0+2+1], v[220:221], v[24:31]
 // Cr += -Ai*Bi
/*  mfmaIndex:35  */
/* sched write - iter 1 writesPerItem=1 */
s_waitcnt vmcnt(0)                                 // lgkmcnt=-1 vmcnt=0wait for global read before writing to local
_ds_store_b128 v[vgprLocalWriteAddrA], v[vgprG2LA+8:vgprG2LA+8+3] offset:9216 // lwoA_0_0_2_0 = (0*LSCA)*(MT0I+PAD) + (2*LSPA) = 9216
v_mfma_f64_16x16x4_f64 v[64+0:71+0], v[vgprValuB_X1_I0+12+0+0+2:vgprValuB_X1_I0+12+0+0+2+1], v[vgprValuA_X1_I0+0+0+0:vgprValuA_X1_I0+0+0+0+1], v[64:71]
 // Ci += Ar*Bi
/*  mfmaIndex:36  */
_buffer_load_b128 v[vgprG2LA+8:vgprG2LA+8+3], v[vgprGlobalReadOffsetA+0], s[sgprSrdA:sgprSrdA+3], s[sgprScalarGlobalReadOffsetA+1], offen offset:0 // G -> Reg 0_0_2_0
v_mfma_f64_16x16x4_f64 v[32+0:39+0], v[vgprValuB_X1_I0+16+0+0:vgprValuB_X1_I0+16+0+0+1], v[vgprValuA_X1_I0+0+0+0:vgprValuA_X1_I0+0+0+0+1], v[32:39]
 // Cr += Ar*Br
/*  mfmaIndex:37  */
v_mfma_f64_16x16x4_f64 v[72+0:79+0], v[vgprValuB_X1_I0+16+0+0:vgprValuB_X1_I0+16+0+0+1], v[vgprValuA_X1_I0+0+0+0+2:vgprValuA_X1_I0+0+0+0+2+1], v[72:79]
 // Ci += Ai*Br
/*  mfmaIndex:38  */
v_mfma_f64_16x16x4_f64 v[32+0:39+0], v[vgprValuB_X1_I0+16+0+0+2:vgprValuB_X1_I0+16+0+0+2+1], v[220:221], v[32:39]
 // Cr += -Ai*Bi
/*  mfmaIndex:39  */
v_mfma_f64_16x16x4_f64 v[72+0:79+0], v[vgprValuB_X1_I0+16+0+0+2:vgprValuB_X1_I0+16+0+0+2+1], v[vgprValuA_X1_I0+0+0+0:vgprValuA_X1_I0+0+0+0+1], v[72:79]
 // Ci += Ar*Bi
/* numPrefetchIter=0 */
/* dataAtIterA=0 numReadsIterA=2 skipReadsIterA=1 readsPerIterA=1 */
/* dataAtIterB=0 numReadsIterB=2 skipReadsIterB=1 readsPerIterB=5 */


/* iter 2 (reset local read pointers iteration)  (swap local read pointers iteration)  */

/*  grEndMfmaIndex:4, lwStartMfmaIndex:25, lwEndMfmaIndex:67  */
/*  numMfmaForLR:10, barrierMfmaIndex:69, LocalWritePerMfma:0.195 */
/*  mfmaIndex:40  */
/* sched write - iter 2 writesPerItem=1 */
s_waitcnt vmcnt(0)                                 // lgkmcnt=-1 vmcnt=0wait for global read before writing to local
_ds_store_b128 v[vgprLocalWriteAddrA], v[vgprG2LA+12:vgprG2LA+12+3] offset:13824 // lwoA_0_0_3_0 = (0*LSCA)*(MT0I+PAD) + (3*LSPA) = 13824
v_add_f64 v[220:221], -v[vgprValuA_X2_I0+0+0+0+2:vgprValuA_X2_I0+0+0+0+2+1], 0 // Ai=-Ai
v_mfma_f64_16x16x4_f64 v[0+0:7+0], v[vgprValuB_X2_I0+0+0+0:vgprValuB_X2_I0+0+0+0+1], v[vgprValuA_X2_I0+0+0+0:vgprValuA_X2_I0+0+0+0+1], v[0:7]
 // Cr += Ar*Br
/*  mfmaIndex:41  */
_buffer_load_b128 v[vgprG2LA+12:vgprG2LA+12+3], v[vgprGlobalReadOffsetA+0], s[sgprSrdA:sgprSrdA+3], s[sgprScalarGlobalReadOffsetA+2], offen offset:0 // G -> Reg 0_0_3_0
v_mfma_f64_16x16x4_f64 v[40+0:47+0], v[vgprValuB_X2_I0+0+0+0:vgprValuB_X2_I0+0+0+0+1], v[vgprValuA_X2_I0+0+0+0+2:vgprValuA_X2_I0+0+0+0+2+1], v[40:47]
 // Ci += Ai*Br
/*  mfmaIndex:42  */
v_mfma_f64_16x16x4_f64 v[0+0:7+0], v[vgprValuB_X2_I0+0+0+0+2:vgprValuB_X2_I0+0+0+0+2+1], v[220:221], v[0:7]
 // Cr += -Ai*Bi
/*  mfmaIndex:43  */
v_mfma_f64_16x16x4_f64 v[40+0:47+0], v[vgprValuB_X2_I0+0+0+0+2:vgprValuB_X2_I0+0+0+0+2+1], v[vgprValuA_X2_I0+0+0+0:vgprValuA_X2_I0+0+0+0+1], v[40:47]
 // Ci += Ar*Bi
/*  mfmaIndex:44  */
v_mfma_f64_16x16x4_f64 v[8+0:15+0], v[vgprValuB_X2_I0+4+0+0:vgprValuB_X2_I0+4+0+0+1], v[vgprValuA_X2_I0+0+0+0:vgprValuA_X2_I0+0+0+0+1], v[8:15]
 // Cr += Ar*Br
/*  mfmaIndex:45  */
/* sched write - iter 2 writesPerItem=1 */
s_waitcnt vmcnt(0)                                 // lgkmcnt=-1 vmcnt=0wait for global read before writing to local
_ds_store_b128 v[vgprLocalWriteAddrB], v[vgprG2LB+0:vgprG2LB+0+3] offset:0 // lwoB_0_0_0_0 = (0*LSCB) + (0*LSPB)(*MT1J+PAD) = 0
v_mfma_f64_16x16x4_f64 v[48+0:55+0], v[vgprValuB_X2_I0+4+0+0:vgprValuB_X2_I0+4+0+0+1], v[vgprValuA_X2_I0+0+0+0+2:vgprValuA_X2_I0+0+0+0+2+1], v[48:55]
 // Ci += Ai*Br
/*  mfmaIndex:46  */
_buffer_load_b128 v[vgprG2LB+0:vgprG2LB+0+3], v[vgprGlobalReadOffsetB+0], s[sgprSrdB:sgprSrdB+3], 0, offen offset:0,  nt // G -> Reg 0_0_0_0
v_mfma_f64_16x16x4_f64 v[8+0:15+0], v[vgprValuB_X2_I0+4+0+0+2:vgprValuB_X2_I0+4+0+0+2+1], v[220:221], v[8:15]
 // Cr += -Ai*Bi
/*  mfmaIndex:47  */
v_mfma_f64_16x16x4_f64 v[48+0:55+0], v[vgprValuB_X2_I0+4+0+0+2:vgprValuB_X2_I0+4+0+0+2+1], v[vgprValuA_X2_I0+0+0+0:vgprValuA_X2_I0+0+0+0+1], v[48:55]
 // Ci += Ar*Bi
/*  mfmaIndex:48  */
v_mfma_f64_16x16x4_f64 v[16+0:23+0], v[vgprValuB_X2_I0+8+0+0:vgprValuB_X2_I0+8+0+0+1], v[vgprValuA_X2_I0+0+0+0:vgprValuA_X2_I0+0+0+0+1], v[16:23]
 // Cr += Ar*Br
/*  mfmaIndex:49  */
v_mfma_f64_16x16x4_f64 v[56+0:63+0], v[vgprValuB_X2_I0+8+0+0:vgprValuB_X2_I0+8+0+0+1], v[vgprValuA_X2_I0+0+0+0+2:vgprValuA_X2_I0+0+0+0+2+1], v[56:63]
 // Ci += Ai*Br
/*  mfmaIndex:50  */
/* sched write - iter 2 writesPerItem=1 */
s_waitcnt vmcnt(0)                                 // lgkmcnt=-1 vmcnt=0wait for global read before writing to local
_ds_store_b128 v[vgprLocalWriteAddrB], v[vgprG2LB+4:vgprG2LB+4+3] offset:256 // lwoB_1_0_0_0 = (1*LSCB) + (0*LSPB)(*MT1J+PAD) = 256
v_mfma_f64_16x16x4_f64 v[16+0:23+0], v[vgprValuB_X2_I0+8+0+0+2:vgprValuB_X2_I0+8+0+0+2+1], v[220:221], v[16:23]
 // Cr += -Ai*Bi
/*  mfmaIndex:51  */
_buffer_load_b128 v[vgprG2LB+4:vgprG2LB+4+3], v[vgprGlobalReadOffsetB+0], s[sgprSrdB:sgprSrdB+3], s[sgprScalarGlobalReadOffsetB+0], offen offset:0,  nt // G -> Reg 1_0_0_0
v_mfma_f64_16x16x4_f64 v[56+0:63+0], v[vgprValuB_X2_I0+8+0+0+2:vgprValuB_X2_I0+8+0+0+2+1], v[vgprValuA_X2_I0+0+0+0:vgprValuA_X2_I0+0+0+0+1], v[56:63]
 // Ci += Ar*Bi
/*  mfmaIndex:52  */
v_mfma_f64_16x16x4_f64 v[24+0:31+0], v[vgprValuB_X2_I0+12+0+0:vgprValuB_X2_I0+12+0+0+1], v[vgprValuA_X2_I0+0+0+0:vgprValuA_X2_I0+0+0+0+1], v[24:31]
 // Cr += Ar*Br
/*  mfmaIndex:53  */
v_mfma_f64_16x16x4_f64 v[64+0:71+0], v[vgprValuB_X2_I0+12+0+0:vgprValuB_X2_I0+12+0+0+1], v[vgprValuA_X2_I0+0+0+0+2:vgprValuA_X2_I0+0+0+0+2+1], v[64:71]
 // Ci += Ai*Br
/*  mfmaIndex:54  */
v_mfma_f64_16x16x4_f64 v[24+0:31+0], v[vgprValuB_X2_I0+12+0+0+2:vgprValuB_X2_I0+12+0+0+2+1], v[220:221], v[24:31]
 // Cr += -Ai*Bi
/*  mfmaIndex:55  */
/* sched write - iter 2 writesPerItem=1 */
s_waitcnt vmcnt(0)                                 // lgkmcnt=-1 vmcnt=0wait for global read before writing to local
_ds_store_b128 v[vgprLocalWriteAddrB], v[vgprG2LB+8:vgprG2LB+8+3] offset:512 // lwoB_2_0_0_0 = (2*LSCB) + (0*LSPB)(*MT1J+PAD) = 512
v_mfma_f64_16x16x4_f64 v[64+0:71+0], v[vgprValuB_X2_I0+12+0+0+2:vgprValuB_X2_I0+12+0+0+2+1], v[vgprValuA_X2_I0+0+0+0:vgprValuA_X2_I0+0+0+0+1], v[64:71]
 // Ci += Ar*Bi
/*  mfmaIndex:56  */
_buffer_load_b128 v[vgprG2LB+8:vgprG2LB+8+3], v[vgprGlobalReadOffsetB+0], s[sgprSrdB:sgprSrdB+3], s[sgprScalarGlobalReadOffsetB+1], offen offset:0,  nt // G -> Reg 2_0_0_0
v_mfma_f64_16x16x4_f64 v[32+0:39+0], v[vgprValuB_X2_I0+16+0+0:vgprValuB_X2_I0+16+0+0+1], v[vgprValuA_X2_I0+0+0+0:vgprValuA_X2_I0+0+0+0+1], v[32:39]
 // Cr += Ar*Br
/*  mfmaIndex:57  */
v_mfma_f64_16x16x4_f64 v[72+0:79+0], v[vgprValuB_X2_I0+16+0+0:vgprValuB_X2_I0+16+0+0+1], v[vgprValuA_X2_I0+0+0+0+2:vgprValuA_X2_I0+0+0+0+2+1], v[72:79]
 // Ci += Ai*Br
/*  mfmaIndex:58  */
v_mfma_f64_16x16x4_f64 v[32+0:39+0], v[vgprValuB_X2_I0+16+0+0+2:vgprValuB_X2_I0+16+0+0+2+1], v[220:221], v[32:39]
 // Cr += -Ai*Bi
/*  mfmaIndex:59  */

/* local read swap offsets a */

/* local read swap offsets b */

/* local read init pointers a */

/* localReadInitPointers */

/* local read init pointers b */

/* localReadInitPointers */
v_mfma_f64_16x16x4_f64 v[72+0:79+0], v[vgprValuB_X2_I0+16+0+0+2:vgprValuB_X2_I0+16+0+0+2+1], v[vgprValuA_X2_I0+0+0+0:vgprValuA_X2_I0+0+0+0+1], v[72:79]
 // Ci += Ar*Bi


/* iter 3 (swap and reset local write pointers iteration)  */

/*  grEndMfmaIndex:4, lwStartMfmaIndex:25, lwEndMfmaIndex:67  */
/*  numMfmaForLR:10, barrierMfmaIndex:69, LocalWritePerMfma:0.195 */
/*  mfmaIndex:60  */
/* sched write - iter 3 writesPerItem=1 */
s_waitcnt vmcnt(0)                                 // lgkmcnt=-1 vmcnt=0wait for global read before writing to local
_ds_store_b128 v[vgprLocalWriteAddrB], v[vgprG2LB+12:vgprG2LB+12+3] offset:768 // lwoB_3_0_0_0 = (3*LSCB) + (0*LSPB)(*MT1J+PAD) = 768
v_add_f64 v[220:221], -v[vgprValuA_X3_I0+0+0+0+2:vgprValuA_X3_I0+0+0+0+2+1], 0 // Ai=-Ai
v_mfma_f64_16x16x4_f64 v[0+0:7+0], v[vgprValuB_X3_I0+0+0+0:vgprValuB_X3_I0+0+0+0+1], v[vgprValuA_X3_I0+0+0+0:vgprValuA_X3_I0+0+0+0+1], v[0:7]
 // Cr += Ar*Br
/*  mfmaIndex:61  */
_buffer_load_b128 v[vgprG2LB+12:vgprG2LB+12+3], v[vgprGlobalReadOffsetB+0], s[sgprSrdB:sgprSrdB+3], s[sgprScalarGlobalReadOffsetB+2], offen offset:0,  nt // G -> Reg 3_0_0_0
v_mfma_f64_16x16x4_f64 v[40+0:47+0], v[vgprValuB_X3_I0+0+0+0:vgprValuB_X3_I0+0+0+0+1], v[vgprValuA_X3_I0+0+0+0+2:vgprValuA_X3_I0+0+0+0+2+1], v[40:47]
 // Ci += Ai*Br
/*  mfmaIndex:62  */
v_mfma_f64_16x16x4_f64 v[0+0:7+0], v[vgprValuB_X3_I0+0+0+0+2:vgprValuB_X3_I0+0+0+0+2+1], v[220:221], v[0:7]
 // Cr += -Ai*Bi
/*  mfmaIndex:63  */
v_mfma_f64_16x16x4_f64 v[40+0:47+0], v[vgprValuB_X3_I0+0+0+0+2:vgprValuB_X3_I0+0+0+0+2+1], v[vgprValuA_X3_I0+0+0+0:vgprValuA_X3_I0+0+0+0+1], v[40:47]
 // Ci += Ar*Bi
/*  mfmaIndex:64  */
v_mfma_f64_16x16x4_f64 v[8+0:15+0], v[vgprValuB_X3_I0+4+0+0:vgprValuB_X3_I0+4+0+0+1], v[vgprValuA_X3_I0+0+0+0:vgprValuA_X3_I0+0+0+0+1], v[8:15]
 // Cr += Ar*Br
/*  mfmaIndex:65  */
v_mfma_f64_16x16x4_f64 v[48+0:55+0], v[vgprValuB_X3_I0+4+0+0:vgprValuB_X3_I0+4+0+0+1], v[vgprValuA_X3_I0+0+0+0+2:vgprValuA_X3_I0+0+0+0+2+1], v[48:55]
 // Ci += Ai*Br
/*  mfmaIndex:66  */
/* sched write - iter 3 writesPerItem=1 */
s_waitcnt vmcnt(0)                                 // lgkmcnt=-1 vmcnt=0wait for global read before writing to local
_ds_store_b128 v[vgprLocalWriteAddrB], v[vgprG2LB+16:vgprG2LB+16+3] offset:1024 // lwoB_4_0_0_0 = (4*LSCB) + (0*LSPB)(*MT1J+PAD) = 1024
v_mfma_f64_16x16x4_f64 v[8+0:15+0], v[vgprValuB_X3_I0+4+0+0+2:vgprValuB_X3_I0+4+0+0+2+1], v[220:221], v[8:15]
 // Cr += -Ai*Bi
/*  mfmaIndex:67  */
_buffer_load_b128 v[vgprG2LB+16:vgprG2LB+16+3], v[vgprGlobalReadOffsetB+0], s[sgprSrdB:sgprSrdB+3], s[sgprScalarGlobalReadOffsetB+3], offen offset:0,  nt // G -> Reg 4_0_0_0

/* local write swap offsets a */

/* local write swap offsets b */
v_mfma_f64_16x16x4_f64 v[48+0:55+0], v[vgprValuB_X3_I0+4+0+0+2:vgprValuB_X3_I0+4+0+0+2+1], v[vgprValuA_X3_I0+0+0+0:vgprValuA_X3_I0+0+0+0+1], v[48:55]
 // Ci += Ar*Bi
/*  mfmaIndex:68  */
v_mfma_f64_16x16x4_f64 v[16+0:23+0], v[vgprValuB_X3_I0+8+0+0:vgprValuB_X3_I0+8+0+0+1], v[vgprValuA_X3_I0+0+0+0:vgprValuA_X3_I0+0+0+0+1], v[16:23]
 // Cr += Ar*Br
/*  mfmaIndex:69  */
s_waitcnt lgkmcnt(0)                               // lgkmcnt=0 vmcnt=-13wait for local write
// Skip force waitcnt0
s_barrier //
v_mfma_f64_16x16x4_f64 v[56+0:63+0], v[vgprValuB_X3_I0+8+0+0:vgprValuB_X3_I0+8+0+0+1], v[vgprValuA_X3_I0+0+0+0+2:vgprValuA_X3_I0+0+0+0+2+1], v[56:63]
 // Ci += Ai*Br
/*  mfmaIndex:70  */
_ds_load_b128 v[vgprValuA_X0_I0+0:vgprValuA_X0_I0+0+3], v[vgprLocalReadAddrA] offset:0 // L -> Reg lro=0 swapByteOffset=0 ti=64 vIdx=0 rIdx=0 oIdx=0 buffer=0 iui=0
v_mfma_f64_16x16x4_f64 v[16+0:23+0], v[vgprValuB_X3_I0+8+0+0+2:vgprValuB_X3_I0+8+0+0+2+1], v[220:221], v[16:23]
 // Cr += -Ai*Bi
/*  mfmaIndex:71  */
_ds_load_b128 v[vgprValuB_X0_I0+0:vgprValuB_X0_I0+0+3], v[vgprLocalReadAddrB] offset:0 // L -> Reg lro=0 swapByteOffset=0 ti=16 vIdx=0 rIdx=0 oIdx=0 buffer=0 iui=0
v_mfma_f64_16x16x4_f64 v[56+0:63+0], v[vgprValuB_X3_I0+8+0+0+2:vgprValuB_X3_I0+8+0+0+2+1], v[vgprValuA_X3_I0+0+0+0:vgprValuA_X3_I0+0+0+0+1], v[56:63]
 // Ci += Ar*Bi
/*  mfmaIndex:72  */
_ds_load_b128 v[vgprValuB_X0_I0+4:vgprValuB_X0_I0+4+3], v[vgprLocalReadAddrB] offset:256 // L -> Reg lro=0 swapByteOffset=0 ti=16 vIdx=1 rIdx=0 oIdx=0 buffer=0 iui=0
v_mfma_f64_16x16x4_f64 v[24+0:31+0], v[vgprValuB_X3_I0+12+0+0:vgprValuB_X3_I0+12+0+0+1], v[vgprValuA_X3_I0+0+0+0:vgprValuA_X3_I0+0+0+0+1], v[24:31]
 // Cr += Ar*Br
/*  mfmaIndex:73  */
_ds_load_b128 v[vgprValuB_X0_I0+8:vgprValuB_X0_I0+8+3], v[vgprLocalReadAddrB] offset:512 // L -> Reg lro=0 swapByteOffset=0 ti=16 vIdx=2 rIdx=0 oIdx=0 buffer=0 iui=0
v_mfma_f64_16x16x4_f64 v[64+0:71+0], v[vgprValuB_X3_I0+12+0+0:vgprValuB_X3_I0+12+0+0+1], v[vgprValuA_X3_I0+0+0+0+2:vgprValuA_X3_I0+0+0+0+2+1], v[64:71]
 // Ci += Ai*Br
/*  mfmaIndex:74  */
_ds_load_b128 v[vgprValuB_X0_I0+12:vgprValuB_X0_I0+12+3], v[vgprLocalReadAddrB] offset:768 // L -> Reg lro=0 swapByteOffset=0 ti=16 vIdx=3 rIdx=0 oIdx=0 buffer=0 iui=0
v_mfma_f64_16x16x4_f64 v[24+0:31+0], v[vgprValuB_X3_I0+12+0+0+2:vgprValuB_X3_I0+12+0+0+2+1], v[220:221], v[24:31]
 // Cr += -Ai*Bi
/*  mfmaIndex:75  */
_ds_load_b128 v[vgprValuB_X0_I0+16:vgprValuB_X0_I0+16+3], v[vgprLocalReadAddrB] offset:1024 // L -> Reg lro=0 swapByteOffset=0 ti=16 vIdx=4 rIdx=0 oIdx=0 buffer=0 iui=0
v_mfma_f64_16x16x4_f64 v[64+0:71+0], v[vgprValuB_X3_I0+12+0+0+2:vgprValuB_X3_I0+12+0+0+2+1], v[vgprValuA_X3_I0+0+0+0:vgprValuA_X3_I0+0+0+0+1], v[64:71]
 // Ci += Ar*Bi
/*  mfmaIndex:76  */
v_mfma_f64_16x16x4_f64 v[32+0:39+0], v[vgprValuB_X3_I0+16+0+0:vgprValuB_X3_I0+16+0+0+1], v[vgprValuA_X3_I0+0+0+0:vgprValuA_X3_I0+0+0+0+1], v[32:39]
 // Cr += Ar*Br
/*  mfmaIndex:77  */
v_mfma_f64_16x16x4_f64 v[72+0:79+0], v[vgprValuB_X3_I0+16+0+0:vgprValuB_X3_I0+16+0+0+1], v[vgprValuA_X3_I0+0+0+0+2:vgprValuA_X3_I0+0+0+0+2+1], v[72:79]
 // Ci += Ai*Br
/*  mfmaIndex:78  */
v_mfma_f64_16x16x4_f64 v[32+0:39+0], v[vgprValuB_X3_I0+16+0+0+2:vgprValuB_X3_I0+16+0+0+2+1], v[220:221], v[32:39]
 // Cr += -Ai*Bi
/*  mfmaIndex:79  */
v_mfma_f64_16x16x4_f64 v[72+0:79+0], v[vgprValuB_X3_I0+16+0+0+2:vgprValuB_X3_I0+16+0+0+2+1], v[vgprValuA_X3_I0+0+0+0:vgprValuA_X3_I0+0+0+0+1], v[72:79]
 // Ci += Ar*Bi


/******************************************/
/* Unrolled Loop - End 1/2                */
/******************************************/


/* closeLoop loopL finalLoop=0 tailLoop=0 */
s_sub_u32 s[sgprLoopCounterL], s[sgprLoopCounterL], 1 // dec counterL
s_cmp_eq_i32 s[sgprLoopCounterL], 0x2              // counterL==2
s_cbranch_scc1 LoopEndL_oddexit_3                  // exit LoopL


/******************************************/
/* Unrolled Loop 2/2 - Begin              */
/******************************************/

label_0016: // LoopCopy2 


/* Begin Each Unroll: Check VGPR.checkin for INT8 LW */


	;; [unrolled: 1-line block ×3, first 2 shown]
/* iter 0 */

/*  grEndMfmaIndex:4, lwStartMfmaIndex:25, lwEndMfmaIndex:67  */
/*  numMfmaForLR:10, barrierMfmaIndex:69, LocalWritePerMfma:0.195 */
/*  mfmaIndex:0  */
s_waitcnt lgkmcnt(0)                               // lgkmcnt=0 vmcnt=-1wait for prior local read local write old=0, new=0 newLW=0 newLR=0
v_add_f64 v[220:221], -v[vgprValuA_X0_I0+0+0+0+2:vgprValuA_X0_I0+0+0+0+2+1], 0 // Ai=-Ai
v_mfma_f64_16x16x4_f64 v[0+0:7+0], v[vgprValuB_X0_I0+0+0+0:vgprValuB_X0_I0+0+0+0+1], v[vgprValuA_X0_I0+0+0+0:vgprValuA_X0_I0+0+0+0+1], v[0:7]
 // Cr += Ar*Br
/*  mfmaIndex:1  */
_ds_load_b128 v[vgprValuA_X1_I0+0:vgprValuA_X1_I0+0+3], v[vgprLocalReadAddrA] offset:64 // L -> Reg lro=4 swapByteOffset=0 ti=64 vIdx=0 rIdx=0 oIdx=0 buffer=1 iui=0

/* global read inc A loopL */
s_add_u32 s[sgprSrdA+0], s[sgprSrdA+0], s[sgprGlobalReadIncsA+0] // gra SRD += inc(lower)
s_addc_u32  s[sgprSrdA+1], s[sgprSrdA+1], 0        // gra SRD += inc(upper)
s_sub_u32 s[sgprShadowLimitA+0], s[sgprShadowLimitA+0], s[sgprGlobalReadIncsA+0] // limit -= inc)
v_mfma_f64_16x16x4_f64 v[40+0:47+0], v[vgprValuB_X0_I0+0+0+0:vgprValuB_X0_I0+0+0+0+1], v[vgprValuA_X0_I0+0+0+0+2:vgprValuA_X0_I0+0+0+0+2+1], v[40:47]
 // Ci += Ai*Br
/*  mfmaIndex:2  */
_ds_load_b128 v[vgprValuB_X1_I0+0:vgprValuB_X1_I0+0+3], v[vgprLocalReadAddrB] offset:5120 // L -> Reg lro=320 swapByteOffset=0 ti=16 vIdx=0 rIdx=0 oIdx=0 buffer=1 iui=0
s_subb_u32 s[sgprShadowLimitA+1], s[sgprShadowLimitA+1], 0 // limit -= inc)
s_cmp_eq_u32 s[sgprShadowLimitA+1], 0              // are we within 2^32?
s_cmov_b32 s[sgprSrdA+2], s[sgprShadowLimitA+0]    // Move shadow to real if we are within 2^32
v_mfma_f64_16x16x4_f64 v[0+0:7+0], v[vgprValuB_X0_I0+0+0+0+2:vgprValuB_X0_I0+0+0+0+2+1], v[220:221], v[0:7]
 // Cr += -Ai*Bi
/*  mfmaIndex:3  */
_ds_load_b128 v[vgprValuB_X1_I0+4:vgprValuB_X1_I0+4+3], v[vgprLocalReadAddrB] offset:5376 // L -> Reg lro=320 swapByteOffset=0 ti=16 vIdx=1 rIdx=0 oIdx=0 buffer=1 iui=0

/* global read inc B loopL */
s_add_u32 s[sgprSrdB+0], s[sgprSrdB+0], s[sgprGlobalReadIncsB+0] // gra SRD += inc(lower)
s_addc_u32  s[sgprSrdB+1], s[sgprSrdB+1], 0        // gra SRD += inc(upper)
s_sub_u32 s[sgprShadowLimitB+0], s[sgprShadowLimitB+0], s[sgprGlobalReadIncsB+0] // limit -= inc)
v_mfma_f64_16x16x4_f64 v[40+0:47+0], v[vgprValuB_X0_I0+0+0+0+2:vgprValuB_X0_I0+0+0+0+2+1], v[vgprValuA_X0_I0+0+0+0:vgprValuA_X0_I0+0+0+0+1], v[40:47]
 // Ci += Ar*Bi
/*  mfmaIndex:4  */
_ds_load_b128 v[vgprValuB_X1_I0+8:vgprValuB_X1_I0+8+3], v[vgprLocalReadAddrB] offset:5632 // L -> Reg lro=320 swapByteOffset=0 ti=16 vIdx=2 rIdx=0 oIdx=0 buffer=1 iui=0
s_subb_u32 s[sgprShadowLimitB+1], s[sgprShadowLimitB+1], 0 // limit -= inc)
s_cmp_eq_u32 s[sgprShadowLimitB+1], 0              // are we within 2^32?
s_cmov_b32 s[sgprSrdB+2], s[sgprShadowLimitB+0]    // Move shadow to real if we are within 2^32
v_mfma_f64_16x16x4_f64 v[8+0:15+0], v[vgprValuB_X0_I0+4+0+0:vgprValuB_X0_I0+4+0+0+1], v[vgprValuA_X0_I0+0+0+0:vgprValuA_X0_I0+0+0+0+1], v[8:15]
 // Cr += Ar*Br
/*  mfmaIndex:5  */
_ds_load_b128 v[vgprValuB_X1_I0+12:vgprValuB_X1_I0+12+3], v[vgprLocalReadAddrB] offset:5888 // L -> Reg lro=320 swapByteOffset=0 ti=16 vIdx=3 rIdx=0 oIdx=0 buffer=1 iui=0
v_mfma_f64_16x16x4_f64 v[48+0:55+0], v[vgprValuB_X0_I0+4+0+0:vgprValuB_X0_I0+4+0+0+1], v[vgprValuA_X0_I0+0+0+0+2:vgprValuA_X0_I0+0+0+0+2+1], v[48:55]
 // Ci += Ai*Br
/*  mfmaIndex:6  */
_ds_load_b128 v[vgprValuB_X1_I0+16:vgprValuB_X1_I0+16+3], v[vgprLocalReadAddrB] offset:6144 // L -> Reg lro=320 swapByteOffset=0 ti=16 vIdx=4 rIdx=0 oIdx=0 buffer=1 iui=0
/* localReadsVacancy: latencyLeft 1 */
v_mfma_f64_16x16x4_f64 v[8+0:15+0], v[vgprValuB_X0_I0+4+0+0+2:vgprValuB_X0_I0+4+0+0+2+1], v[220:221], v[8:15]
 // Cr += -Ai*Bi
/*  mfmaIndex:7  */
/* localReadsVacancy: latencyLeft 5 */
_ds_load_b128 v[vgprValuA_X2_I0+0:vgprValuA_X2_I0+0+3], v[vgprLocalReadAddrA] offset:128 // L -> Reg lro=8 swapByteOffset=0 ti=64 vIdx=0 rIdx=0 oIdx=0 buffer=2 iui=0
v_mfma_f64_16x16x4_f64 v[48+0:55+0], v[vgprValuB_X0_I0+4+0+0+2:vgprValuB_X0_I0+4+0+0+2+1], v[vgprValuA_X0_I0+0+0+0:vgprValuA_X0_I0+0+0+0+1], v[48:55]
 // Ci += Ar*Bi
/*  mfmaIndex:8  */
/* localReadsVacancy: latencyLeft 5 */
_ds_load_b128 v[vgprValuB_X2_I0+0:vgprValuB_X2_I0+0+3], v[vgprLocalReadAddrB] offset:10240 // L -> Reg lro=640 swapByteOffset=0 ti=16 vIdx=0 rIdx=0 oIdx=0 buffer=2 iui=0
v_mfma_f64_16x16x4_f64 v[16+0:23+0], v[vgprValuB_X0_I0+8+0+0:vgprValuB_X0_I0+8+0+0+1], v[vgprValuA_X0_I0+0+0+0:vgprValuA_X0_I0+0+0+0+1], v[16:23]
 // Cr += Ar*Br
/*  mfmaIndex:9  */
/* localReadsVacancy: latencyLeft 5 */
_ds_load_b128 v[vgprValuB_X2_I0+4:vgprValuB_X2_I0+4+3], v[vgprLocalReadAddrB] offset:10496 // L -> Reg lro=640 swapByteOffset=0 ti=16 vIdx=1 rIdx=0 oIdx=0 buffer=2 iui=0
v_mfma_f64_16x16x4_f64 v[56+0:63+0], v[vgprValuB_X0_I0+8+0+0:vgprValuB_X0_I0+8+0+0+1], v[vgprValuA_X0_I0+0+0+0+2:vgprValuA_X0_I0+0+0+0+2+1], v[56:63]
 // Ci += Ai*Br
/*  mfmaIndex:10  */
/* localReadsVacancy: latencyLeft 5 */
_ds_load_b128 v[vgprValuB_X2_I0+8:vgprValuB_X2_I0+8+3], v[vgprLocalReadAddrB] offset:10752 // L -> Reg lro=640 swapByteOffset=0 ti=16 vIdx=2 rIdx=0 oIdx=0 buffer=2 iui=0
v_mfma_f64_16x16x4_f64 v[16+0:23+0], v[vgprValuB_X0_I0+8+0+0+2:vgprValuB_X0_I0+8+0+0+2+1], v[220:221], v[16:23]
 // Cr += -Ai*Bi
/*  mfmaIndex:11  */
/* localReadsVacancy: latencyLeft 5 */
_ds_load_b128 v[vgprValuB_X2_I0+12:vgprValuB_X2_I0+12+3], v[vgprLocalReadAddrB] offset:11008 // L -> Reg lro=640 swapByteOffset=0 ti=16 vIdx=3 rIdx=0 oIdx=0 buffer=2 iui=0
v_mfma_f64_16x16x4_f64 v[56+0:63+0], v[vgprValuB_X0_I0+8+0+0+2:vgprValuB_X0_I0+8+0+0+2+1], v[vgprValuA_X0_I0+0+0+0:vgprValuA_X0_I0+0+0+0+1], v[56:63]
 // Ci += Ar*Bi
/*  mfmaIndex:12  */
/* localReadsVacancy: latencyLeft 5 */
_ds_load_b128 v[vgprValuB_X2_I0+16:vgprValuB_X2_I0+16+3], v[vgprLocalReadAddrB] offset:11264 // L -> Reg lro=640 swapByteOffset=0 ti=16 vIdx=4 rIdx=0 oIdx=0 buffer=2 iui=0
v_mfma_f64_16x16x4_f64 v[24+0:31+0], v[vgprValuB_X0_I0+12+0+0:vgprValuB_X0_I0+12+0+0+1], v[vgprValuA_X0_I0+0+0+0:vgprValuA_X0_I0+0+0+0+1], v[24:31]
 // Cr += Ar*Br
/*  mfmaIndex:13  */
/* localReadsVacancy: latencyLeft 5 */
_ds_load_b128 v[vgprValuA_X3_I0+0:vgprValuA_X3_I0+0+3], v[vgprLocalReadAddrA] offset:192 // L -> Reg lro=12 swapByteOffset=0 ti=64 vIdx=0 rIdx=0 oIdx=0 buffer=3 iui=0
v_mfma_f64_16x16x4_f64 v[64+0:71+0], v[vgprValuB_X0_I0+12+0+0:vgprValuB_X0_I0+12+0+0+1], v[vgprValuA_X0_I0+0+0+0+2:vgprValuA_X0_I0+0+0+0+2+1], v[64:71]
 // Ci += Ai*Br
/*  mfmaIndex:14  */
/* localReadsVacancy: latencyLeft 5 */
_ds_load_b128 v[vgprValuB_X3_I0+0:vgprValuB_X3_I0+0+3], v[vgprLocalReadAddrB] offset:15360 // L -> Reg lro=960 swapByteOffset=0 ti=16 vIdx=0 rIdx=0 oIdx=0 buffer=3 iui=0
v_mfma_f64_16x16x4_f64 v[24+0:31+0], v[vgprValuB_X0_I0+12+0+0+2:vgprValuB_X0_I0+12+0+0+2+1], v[220:221], v[24:31]
 // Cr += -Ai*Bi
/*  mfmaIndex:15  */
/* localReadsVacancy: latencyLeft 5 */
_ds_load_b128 v[vgprValuB_X3_I0+4:vgprValuB_X3_I0+4+3], v[vgprLocalReadAddrB] offset:15616 // L -> Reg lro=960 swapByteOffset=0 ti=16 vIdx=1 rIdx=0 oIdx=0 buffer=3 iui=0
v_mfma_f64_16x16x4_f64 v[64+0:71+0], v[vgprValuB_X0_I0+12+0+0+2:vgprValuB_X0_I0+12+0+0+2+1], v[vgprValuA_X0_I0+0+0+0:vgprValuA_X0_I0+0+0+0+1], v[64:71]
 // Ci += Ar*Bi
/*  mfmaIndex:16  */
/* localReadsVacancy: latencyLeft 5 */
_ds_load_b128 v[vgprValuB_X3_I0+8:vgprValuB_X3_I0+8+3], v[vgprLocalReadAddrB] offset:15872 // L -> Reg lro=960 swapByteOffset=0 ti=16 vIdx=2 rIdx=0 oIdx=0 buffer=3 iui=0
v_mfma_f64_16x16x4_f64 v[32+0:39+0], v[vgprValuB_X0_I0+16+0+0:vgprValuB_X0_I0+16+0+0+1], v[vgprValuA_X0_I0+0+0+0:vgprValuA_X0_I0+0+0+0+1], v[32:39]
 // Cr += Ar*Br
/*  mfmaIndex:17  */
/* localReadsVacancy: latencyLeft 5 */
_ds_load_b128 v[vgprValuB_X3_I0+12:vgprValuB_X3_I0+12+3], v[vgprLocalReadAddrB] offset:16128 // L -> Reg lro=960 swapByteOffset=0 ti=16 vIdx=3 rIdx=0 oIdx=0 buffer=3 iui=0
v_mfma_f64_16x16x4_f64 v[72+0:79+0], v[vgprValuB_X0_I0+16+0+0:vgprValuB_X0_I0+16+0+0+1], v[vgprValuA_X0_I0+0+0+0+2:vgprValuA_X0_I0+0+0+0+2+1], v[72:79]
 // Ci += Ai*Br
/*  mfmaIndex:18  */
/* localReadsVacancy: latencyLeft 5 */
_ds_load_b128 v[vgprValuB_X3_I0+16:vgprValuB_X3_I0+16+3], v[vgprLocalReadAddrB] offset:16384 // L -> Reg lro=960 swapByteOffset=0 ti=16 vIdx=4 rIdx=0 oIdx=0 buffer=3 iui=0
v_mfma_f64_16x16x4_f64 v[32+0:39+0], v[vgprValuB_X0_I0+16+0+0+2:vgprValuB_X0_I0+16+0+0+2+1], v[220:221], v[32:39]
 // Cr += -Ai*Bi
/*  mfmaIndex:19  */
/* localReadsVacancy: latencyLeft 5 */
v_mfma_f64_16x16x4_f64 v[72+0:79+0], v[vgprValuB_X0_I0+16+0+0+2:vgprValuB_X0_I0+16+0+0+2+1], v[vgprValuA_X0_I0+0+0+0:vgprValuA_X0_I0+0+0+0+1], v[72:79]
 // Ci += Ar*Bi
/* numPrefetchIter=0 */
/* dataAtIterA=-1 numReadsIterA=1 skipReadsIterA=1 readsPerIterA=1 */
/* dataAtIterB=-1 numReadsIterB=1 skipReadsIterB=1 readsPerIterB=5 */


/* iter 1 */

/*  grEndMfmaIndex:4, lwStartMfmaIndex:25, lwEndMfmaIndex:67  */
/*  numMfmaForLR:10, barrierMfmaIndex:69, LocalWritePerMfma:0.195 */
/*  mfmaIndex:20  */
/* localReadsVacancy: latencyLeft 5 */
s_waitcnt lgkmcnt(12)                              // lgkmcnt=0 vmcnt=-1wait for prior local read local write old=6, new=6 newLW=0 newLR=0
v_add_f64 v[220:221], -v[vgprValuA_X1_I0+0+0+0+2:vgprValuA_X1_I0+0+0+0+2+1], 0 // Ai=-Ai
v_mfma_f64_16x16x4_f64 v[0+0:7+0], v[vgprValuB_X1_I0+0+0+0:vgprValuB_X1_I0+0+0+0+1], v[vgprValuA_X1_I0+0+0+0:vgprValuA_X1_I0+0+0+0+1], v[0:7]
 // Cr += Ar*Br
/*  mfmaIndex:21  */
/* localReadsVacancy: latencyLeft 5 */
v_mfma_f64_16x16x4_f64 v[40+0:47+0], v[vgprValuB_X1_I0+0+0+0:vgprValuB_X1_I0+0+0+0+1], v[vgprValuA_X1_I0+0+0+0+2:vgprValuA_X1_I0+0+0+0+2+1], v[40:47]
 // Ci += Ai*Br
/*  mfmaIndex:22  */
/* localReadsVacancy: latencyLeft 5 */
v_mfma_f64_16x16x4_f64 v[0+0:7+0], v[vgprValuB_X1_I0+0+0+0+2:vgprValuB_X1_I0+0+0+0+2+1], v[220:221], v[0:7]
 // Cr += -Ai*Bi
/*  mfmaIndex:23  */
/* localReadsVacancy: latencyLeft 5 */
v_mfma_f64_16x16x4_f64 v[40+0:47+0], v[vgprValuB_X1_I0+0+0+0+2:vgprValuB_X1_I0+0+0+0+2+1], v[vgprValuA_X1_I0+0+0+0:vgprValuA_X1_I0+0+0+0+1], v[40:47]
 // Ci += Ar*Bi
/*  mfmaIndex:24  */
/* localReadsVacancy: latencyLeft 5 */
/* 1 LDS buffer: read-sync-write */
s_waitcnt lgkmcnt(0)                               // 
s_barrier                                          // 
v_mfma_f64_16x16x4_f64 v[8+0:15+0], v[vgprValuB_X1_I0+4+0+0:vgprValuB_X1_I0+4+0+0+1], v[vgprValuA_X1_I0+0+0+0:vgprValuA_X1_I0+0+0+0+1], v[8:15]
 // Cr += Ar*Br
/*  mfmaIndex:25  */
/* sched write - iter 1 writesPerItem=1 */
s_waitcnt vmcnt(0)                                 // lgkmcnt=-1 vmcnt=0wait for global read before writing to local
_ds_store_b128 v[vgprLocalWriteAddrA], v[vgprG2LA+0:vgprG2LA+0+3] offset:0 // lwoA_0_0_0_0 = (0*LSCA)*(MT0I+PAD) + (0*LSPA) = 0
v_mfma_f64_16x16x4_f64 v[48+0:55+0], v[vgprValuB_X1_I0+4+0+0:vgprValuB_X1_I0+4+0+0+1], v[vgprValuA_X1_I0+0+0+0+2:vgprValuA_X1_I0+0+0+0+2+1], v[48:55]
 // Ci += Ai*Br
/*  mfmaIndex:26  */
_buffer_load_b128 v[vgprG2LA+0:vgprG2LA+0+3], v[vgprGlobalReadOffsetA+0], s[sgprSrdA:sgprSrdA+3], 0, offen offset:0 // G -> Reg 0_0_0_0
v_mfma_f64_16x16x4_f64 v[8+0:15+0], v[vgprValuB_X1_I0+4+0+0+2:vgprValuB_X1_I0+4+0+0+2+1], v[220:221], v[8:15]
 // Cr += -Ai*Bi
/*  mfmaIndex:27  */
v_mfma_f64_16x16x4_f64 v[48+0:55+0], v[vgprValuB_X1_I0+4+0+0+2:vgprValuB_X1_I0+4+0+0+2+1], v[vgprValuA_X1_I0+0+0+0:vgprValuA_X1_I0+0+0+0+1], v[48:55]
 // Ci += Ar*Bi
/*  mfmaIndex:28  */
v_mfma_f64_16x16x4_f64 v[16+0:23+0], v[vgprValuB_X1_I0+8+0+0:vgprValuB_X1_I0+8+0+0+1], v[vgprValuA_X1_I0+0+0+0:vgprValuA_X1_I0+0+0+0+1], v[16:23]
 // Cr += Ar*Br
/*  mfmaIndex:29  */
v_mfma_f64_16x16x4_f64 v[56+0:63+0], v[vgprValuB_X1_I0+8+0+0:vgprValuB_X1_I0+8+0+0+1], v[vgprValuA_X1_I0+0+0+0+2:vgprValuA_X1_I0+0+0+0+2+1], v[56:63]
 // Ci += Ai*Br
/*  mfmaIndex:30  */
/* sched write - iter 1 writesPerItem=1 */
s_waitcnt vmcnt(0)                                 // lgkmcnt=-1 vmcnt=0wait for global read before writing to local
_ds_store_b128 v[vgprLocalWriteAddrA], v[vgprG2LA+4:vgprG2LA+4+3] offset:4608 // lwoA_0_0_1_0 = (0*LSCA)*(MT0I+PAD) + (1*LSPA) = 4608
v_mfma_f64_16x16x4_f64 v[16+0:23+0], v[vgprValuB_X1_I0+8+0+0+2:vgprValuB_X1_I0+8+0+0+2+1], v[220:221], v[16:23]
 // Cr += -Ai*Bi
/*  mfmaIndex:31  */
_buffer_load_b128 v[vgprG2LA+4:vgprG2LA+4+3], v[vgprGlobalReadOffsetA+0], s[sgprSrdA:sgprSrdA+3], s[sgprScalarGlobalReadOffsetA+0], offen offset:0 // G -> Reg 0_0_1_0
v_mfma_f64_16x16x4_f64 v[56+0:63+0], v[vgprValuB_X1_I0+8+0+0+2:vgprValuB_X1_I0+8+0+0+2+1], v[vgprValuA_X1_I0+0+0+0:vgprValuA_X1_I0+0+0+0+1], v[56:63]
 // Ci += Ar*Bi
/*  mfmaIndex:32  */
v_mfma_f64_16x16x4_f64 v[24+0:31+0], v[vgprValuB_X1_I0+12+0+0:vgprValuB_X1_I0+12+0+0+1], v[vgprValuA_X1_I0+0+0+0:vgprValuA_X1_I0+0+0+0+1], v[24:31]
 // Cr += Ar*Br
/*  mfmaIndex:33  */
v_mfma_f64_16x16x4_f64 v[64+0:71+0], v[vgprValuB_X1_I0+12+0+0:vgprValuB_X1_I0+12+0+0+1], v[vgprValuA_X1_I0+0+0+0+2:vgprValuA_X1_I0+0+0+0+2+1], v[64:71]
 // Ci += Ai*Br
/*  mfmaIndex:34  */
v_mfma_f64_16x16x4_f64 v[24+0:31+0], v[vgprValuB_X1_I0+12+0+0+2:vgprValuB_X1_I0+12+0+0+2+1], v[220:221], v[24:31]
 // Cr += -Ai*Bi
/*  mfmaIndex:35  */
/* sched write - iter 1 writesPerItem=1 */
s_waitcnt vmcnt(0)                                 // lgkmcnt=-1 vmcnt=0wait for global read before writing to local
_ds_store_b128 v[vgprLocalWriteAddrA], v[vgprG2LA+8:vgprG2LA+8+3] offset:9216 // lwoA_0_0_2_0 = (0*LSCA)*(MT0I+PAD) + (2*LSPA) = 9216
v_mfma_f64_16x16x4_f64 v[64+0:71+0], v[vgprValuB_X1_I0+12+0+0+2:vgprValuB_X1_I0+12+0+0+2+1], v[vgprValuA_X1_I0+0+0+0:vgprValuA_X1_I0+0+0+0+1], v[64:71]
 // Ci += Ar*Bi
/*  mfmaIndex:36  */
_buffer_load_b128 v[vgprG2LA+8:vgprG2LA+8+3], v[vgprGlobalReadOffsetA+0], s[sgprSrdA:sgprSrdA+3], s[sgprScalarGlobalReadOffsetA+1], offen offset:0 // G -> Reg 0_0_2_0
v_mfma_f64_16x16x4_f64 v[32+0:39+0], v[vgprValuB_X1_I0+16+0+0:vgprValuB_X1_I0+16+0+0+1], v[vgprValuA_X1_I0+0+0+0:vgprValuA_X1_I0+0+0+0+1], v[32:39]
 // Cr += Ar*Br
/*  mfmaIndex:37  */
v_mfma_f64_16x16x4_f64 v[72+0:79+0], v[vgprValuB_X1_I0+16+0+0:vgprValuB_X1_I0+16+0+0+1], v[vgprValuA_X1_I0+0+0+0+2:vgprValuA_X1_I0+0+0+0+2+1], v[72:79]
 // Ci += Ai*Br
/*  mfmaIndex:38  */
v_mfma_f64_16x16x4_f64 v[32+0:39+0], v[vgprValuB_X1_I0+16+0+0+2:vgprValuB_X1_I0+16+0+0+2+1], v[220:221], v[32:39]
 // Cr += -Ai*Bi
/*  mfmaIndex:39  */
v_mfma_f64_16x16x4_f64 v[72+0:79+0], v[vgprValuB_X1_I0+16+0+0+2:vgprValuB_X1_I0+16+0+0+2+1], v[vgprValuA_X1_I0+0+0+0:vgprValuA_X1_I0+0+0+0+1], v[72:79]
 // Ci += Ar*Bi
/* numPrefetchIter=0 */
/* dataAtIterA=0 numReadsIterA=2 skipReadsIterA=1 readsPerIterA=1 */
/* dataAtIterB=0 numReadsIterB=2 skipReadsIterB=1 readsPerIterB=5 */


/* iter 2 (reset local read pointers iteration)  (swap local read pointers iteration)  */

/*  grEndMfmaIndex:4, lwStartMfmaIndex:25, lwEndMfmaIndex:67  */
/*  numMfmaForLR:10, barrierMfmaIndex:69, LocalWritePerMfma:0.195 */
/*  mfmaIndex:40  */
/* sched write - iter 2 writesPerItem=1 */
s_waitcnt vmcnt(0)                                 // lgkmcnt=-1 vmcnt=0wait for global read before writing to local
_ds_store_b128 v[vgprLocalWriteAddrA], v[vgprG2LA+12:vgprG2LA+12+3] offset:13824 // lwoA_0_0_3_0 = (0*LSCA)*(MT0I+PAD) + (3*LSPA) = 13824
v_add_f64 v[220:221], -v[vgprValuA_X2_I0+0+0+0+2:vgprValuA_X2_I0+0+0+0+2+1], 0 // Ai=-Ai
v_mfma_f64_16x16x4_f64 v[0+0:7+0], v[vgprValuB_X2_I0+0+0+0:vgprValuB_X2_I0+0+0+0+1], v[vgprValuA_X2_I0+0+0+0:vgprValuA_X2_I0+0+0+0+1], v[0:7]
 // Cr += Ar*Br
/*  mfmaIndex:41  */
_buffer_load_b128 v[vgprG2LA+12:vgprG2LA+12+3], v[vgprGlobalReadOffsetA+0], s[sgprSrdA:sgprSrdA+3], s[sgprScalarGlobalReadOffsetA+2], offen offset:0 // G -> Reg 0_0_3_0
v_mfma_f64_16x16x4_f64 v[40+0:47+0], v[vgprValuB_X2_I0+0+0+0:vgprValuB_X2_I0+0+0+0+1], v[vgprValuA_X2_I0+0+0+0+2:vgprValuA_X2_I0+0+0+0+2+1], v[40:47]
 // Ci += Ai*Br
/*  mfmaIndex:42  */
v_mfma_f64_16x16x4_f64 v[0+0:7+0], v[vgprValuB_X2_I0+0+0+0+2:vgprValuB_X2_I0+0+0+0+2+1], v[220:221], v[0:7]
 // Cr += -Ai*Bi
/*  mfmaIndex:43  */
v_mfma_f64_16x16x4_f64 v[40+0:47+0], v[vgprValuB_X2_I0+0+0+0+2:vgprValuB_X2_I0+0+0+0+2+1], v[vgprValuA_X2_I0+0+0+0:vgprValuA_X2_I0+0+0+0+1], v[40:47]
 // Ci += Ar*Bi
/*  mfmaIndex:44  */
v_mfma_f64_16x16x4_f64 v[8+0:15+0], v[vgprValuB_X2_I0+4+0+0:vgprValuB_X2_I0+4+0+0+1], v[vgprValuA_X2_I0+0+0+0:vgprValuA_X2_I0+0+0+0+1], v[8:15]
 // Cr += Ar*Br
/*  mfmaIndex:45  */
/* sched write - iter 2 writesPerItem=1 */
s_waitcnt vmcnt(0)                                 // lgkmcnt=-1 vmcnt=0wait for global read before writing to local
_ds_store_b128 v[vgprLocalWriteAddrB], v[vgprG2LB+0:vgprG2LB+0+3] offset:0 // lwoB_0_0_0_0 = (0*LSCB) + (0*LSPB)(*MT1J+PAD) = 0
v_mfma_f64_16x16x4_f64 v[48+0:55+0], v[vgprValuB_X2_I0+4+0+0:vgprValuB_X2_I0+4+0+0+1], v[vgprValuA_X2_I0+0+0+0+2:vgprValuA_X2_I0+0+0+0+2+1], v[48:55]
 // Ci += Ai*Br
/*  mfmaIndex:46  */
_buffer_load_b128 v[vgprG2LB+0:vgprG2LB+0+3], v[vgprGlobalReadOffsetB+0], s[sgprSrdB:sgprSrdB+3], 0, offen offset:0,  nt // G -> Reg 0_0_0_0
v_mfma_f64_16x16x4_f64 v[8+0:15+0], v[vgprValuB_X2_I0+4+0+0+2:vgprValuB_X2_I0+4+0+0+2+1], v[220:221], v[8:15]
 // Cr += -Ai*Bi
/*  mfmaIndex:47  */
v_mfma_f64_16x16x4_f64 v[48+0:55+0], v[vgprValuB_X2_I0+4+0+0+2:vgprValuB_X2_I0+4+0+0+2+1], v[vgprValuA_X2_I0+0+0+0:vgprValuA_X2_I0+0+0+0+1], v[48:55]
 // Ci += Ar*Bi
/*  mfmaIndex:48  */
v_mfma_f64_16x16x4_f64 v[16+0:23+0], v[vgprValuB_X2_I0+8+0+0:vgprValuB_X2_I0+8+0+0+1], v[vgprValuA_X2_I0+0+0+0:vgprValuA_X2_I0+0+0+0+1], v[16:23]
 // Cr += Ar*Br
/*  mfmaIndex:49  */
v_mfma_f64_16x16x4_f64 v[56+0:63+0], v[vgprValuB_X2_I0+8+0+0:vgprValuB_X2_I0+8+0+0+1], v[vgprValuA_X2_I0+0+0+0+2:vgprValuA_X2_I0+0+0+0+2+1], v[56:63]
 // Ci += Ai*Br
/*  mfmaIndex:50  */
/* sched write - iter 2 writesPerItem=1 */
s_waitcnt vmcnt(0)                                 // lgkmcnt=-1 vmcnt=0wait for global read before writing to local
_ds_store_b128 v[vgprLocalWriteAddrB], v[vgprG2LB+4:vgprG2LB+4+3] offset:256 // lwoB_1_0_0_0 = (1*LSCB) + (0*LSPB)(*MT1J+PAD) = 256
v_mfma_f64_16x16x4_f64 v[16+0:23+0], v[vgprValuB_X2_I0+8+0+0+2:vgprValuB_X2_I0+8+0+0+2+1], v[220:221], v[16:23]
 // Cr += -Ai*Bi
/*  mfmaIndex:51  */
_buffer_load_b128 v[vgprG2LB+4:vgprG2LB+4+3], v[vgprGlobalReadOffsetB+0], s[sgprSrdB:sgprSrdB+3], s[sgprScalarGlobalReadOffsetB+0], offen offset:0,  nt // G -> Reg 1_0_0_0
v_mfma_f64_16x16x4_f64 v[56+0:63+0], v[vgprValuB_X2_I0+8+0+0+2:vgprValuB_X2_I0+8+0+0+2+1], v[vgprValuA_X2_I0+0+0+0:vgprValuA_X2_I0+0+0+0+1], v[56:63]
 // Ci += Ar*Bi
/*  mfmaIndex:52  */
v_mfma_f64_16x16x4_f64 v[24+0:31+0], v[vgprValuB_X2_I0+12+0+0:vgprValuB_X2_I0+12+0+0+1], v[vgprValuA_X2_I0+0+0+0:vgprValuA_X2_I0+0+0+0+1], v[24:31]
 // Cr += Ar*Br
/*  mfmaIndex:53  */
v_mfma_f64_16x16x4_f64 v[64+0:71+0], v[vgprValuB_X2_I0+12+0+0:vgprValuB_X2_I0+12+0+0+1], v[vgprValuA_X2_I0+0+0+0+2:vgprValuA_X2_I0+0+0+0+2+1], v[64:71]
 // Ci += Ai*Br
/*  mfmaIndex:54  */
v_mfma_f64_16x16x4_f64 v[24+0:31+0], v[vgprValuB_X2_I0+12+0+0+2:vgprValuB_X2_I0+12+0+0+2+1], v[220:221], v[24:31]
 // Cr += -Ai*Bi
/*  mfmaIndex:55  */
/* sched write - iter 2 writesPerItem=1 */
s_waitcnt vmcnt(0)                                 // lgkmcnt=-1 vmcnt=0wait for global read before writing to local
_ds_store_b128 v[vgprLocalWriteAddrB], v[vgprG2LB+8:vgprG2LB+8+3] offset:512 // lwoB_2_0_0_0 = (2*LSCB) + (0*LSPB)(*MT1J+PAD) = 512
v_mfma_f64_16x16x4_f64 v[64+0:71+0], v[vgprValuB_X2_I0+12+0+0+2:vgprValuB_X2_I0+12+0+0+2+1], v[vgprValuA_X2_I0+0+0+0:vgprValuA_X2_I0+0+0+0+1], v[64:71]
 // Ci += Ar*Bi
/*  mfmaIndex:56  */
_buffer_load_b128 v[vgprG2LB+8:vgprG2LB+8+3], v[vgprGlobalReadOffsetB+0], s[sgprSrdB:sgprSrdB+3], s[sgprScalarGlobalReadOffsetB+1], offen offset:0,  nt // G -> Reg 2_0_0_0
v_mfma_f64_16x16x4_f64 v[32+0:39+0], v[vgprValuB_X2_I0+16+0+0:vgprValuB_X2_I0+16+0+0+1], v[vgprValuA_X2_I0+0+0+0:vgprValuA_X2_I0+0+0+0+1], v[32:39]
 // Cr += Ar*Br
/*  mfmaIndex:57  */
v_mfma_f64_16x16x4_f64 v[72+0:79+0], v[vgprValuB_X2_I0+16+0+0:vgprValuB_X2_I0+16+0+0+1], v[vgprValuA_X2_I0+0+0+0+2:vgprValuA_X2_I0+0+0+0+2+1], v[72:79]
 // Ci += Ai*Br
/*  mfmaIndex:58  */
v_mfma_f64_16x16x4_f64 v[32+0:39+0], v[vgprValuB_X2_I0+16+0+0+2:vgprValuB_X2_I0+16+0+0+2+1], v[220:221], v[32:39]
 // Cr += -Ai*Bi
/*  mfmaIndex:59  */

/* local read swap offsets a */

/* local read swap offsets b */

/* local read init pointers a */

/* localReadInitPointers */

/* local read init pointers b */

/* localReadInitPointers */
v_mfma_f64_16x16x4_f64 v[72+0:79+0], v[vgprValuB_X2_I0+16+0+0+2:vgprValuB_X2_I0+16+0+0+2+1], v[vgprValuA_X2_I0+0+0+0:vgprValuA_X2_I0+0+0+0+1], v[72:79]
 // Ci += Ar*Bi


/* iter 3 (swap and reset local write pointers iteration)  */

/*  grEndMfmaIndex:4, lwStartMfmaIndex:25, lwEndMfmaIndex:67  */
/*  numMfmaForLR:10, barrierMfmaIndex:69, LocalWritePerMfma:0.195 */
/*  mfmaIndex:60  */
/* sched write - iter 3 writesPerItem=1 */
s_waitcnt vmcnt(0)                                 // lgkmcnt=-1 vmcnt=0wait for global read before writing to local
_ds_store_b128 v[vgprLocalWriteAddrB], v[vgprG2LB+12:vgprG2LB+12+3] offset:768 // lwoB_3_0_0_0 = (3*LSCB) + (0*LSPB)(*MT1J+PAD) = 768
v_add_f64 v[220:221], -v[vgprValuA_X3_I0+0+0+0+2:vgprValuA_X3_I0+0+0+0+2+1], 0 // Ai=-Ai
v_mfma_f64_16x16x4_f64 v[0+0:7+0], v[vgprValuB_X3_I0+0+0+0:vgprValuB_X3_I0+0+0+0+1], v[vgprValuA_X3_I0+0+0+0:vgprValuA_X3_I0+0+0+0+1], v[0:7]
 // Cr += Ar*Br
/*  mfmaIndex:61  */
_buffer_load_b128 v[vgprG2LB+12:vgprG2LB+12+3], v[vgprGlobalReadOffsetB+0], s[sgprSrdB:sgprSrdB+3], s[sgprScalarGlobalReadOffsetB+2], offen offset:0,  nt // G -> Reg 3_0_0_0
v_mfma_f64_16x16x4_f64 v[40+0:47+0], v[vgprValuB_X3_I0+0+0+0:vgprValuB_X3_I0+0+0+0+1], v[vgprValuA_X3_I0+0+0+0+2:vgprValuA_X3_I0+0+0+0+2+1], v[40:47]
 // Ci += Ai*Br
/*  mfmaIndex:62  */
v_mfma_f64_16x16x4_f64 v[0+0:7+0], v[vgprValuB_X3_I0+0+0+0+2:vgprValuB_X3_I0+0+0+0+2+1], v[220:221], v[0:7]
 // Cr += -Ai*Bi
/*  mfmaIndex:63  */
v_mfma_f64_16x16x4_f64 v[40+0:47+0], v[vgprValuB_X3_I0+0+0+0+2:vgprValuB_X3_I0+0+0+0+2+1], v[vgprValuA_X3_I0+0+0+0:vgprValuA_X3_I0+0+0+0+1], v[40:47]
 // Ci += Ar*Bi
/*  mfmaIndex:64  */
v_mfma_f64_16x16x4_f64 v[8+0:15+0], v[vgprValuB_X3_I0+4+0+0:vgprValuB_X3_I0+4+0+0+1], v[vgprValuA_X3_I0+0+0+0:vgprValuA_X3_I0+0+0+0+1], v[8:15]
 // Cr += Ar*Br
/*  mfmaIndex:65  */
v_mfma_f64_16x16x4_f64 v[48+0:55+0], v[vgprValuB_X3_I0+4+0+0:vgprValuB_X3_I0+4+0+0+1], v[vgprValuA_X3_I0+0+0+0+2:vgprValuA_X3_I0+0+0+0+2+1], v[48:55]
 // Ci += Ai*Br
/*  mfmaIndex:66  */
/* sched write - iter 3 writesPerItem=1 */
s_waitcnt vmcnt(0)                                 // lgkmcnt=-1 vmcnt=0wait for global read before writing to local
_ds_store_b128 v[vgprLocalWriteAddrB], v[vgprG2LB+16:vgprG2LB+16+3] offset:1024 // lwoB_4_0_0_0 = (4*LSCB) + (0*LSPB)(*MT1J+PAD) = 1024
v_mfma_f64_16x16x4_f64 v[8+0:15+0], v[vgprValuB_X3_I0+4+0+0+2:vgprValuB_X3_I0+4+0+0+2+1], v[220:221], v[8:15]
 // Cr += -Ai*Bi
/*  mfmaIndex:67  */
_buffer_load_b128 v[vgprG2LB+16:vgprG2LB+16+3], v[vgprGlobalReadOffsetB+0], s[sgprSrdB:sgprSrdB+3], s[sgprScalarGlobalReadOffsetB+3], offen offset:0,  nt // G -> Reg 4_0_0_0

/* local write swap offsets a */

/* local write swap offsets b */
v_mfma_f64_16x16x4_f64 v[48+0:55+0], v[vgprValuB_X3_I0+4+0+0+2:vgprValuB_X3_I0+4+0+0+2+1], v[vgprValuA_X3_I0+0+0+0:vgprValuA_X3_I0+0+0+0+1], v[48:55]
 // Ci += Ar*Bi
/*  mfmaIndex:68  */
v_mfma_f64_16x16x4_f64 v[16+0:23+0], v[vgprValuB_X3_I0+8+0+0:vgprValuB_X3_I0+8+0+0+1], v[vgprValuA_X3_I0+0+0+0:vgprValuA_X3_I0+0+0+0+1], v[16:23]
 // Cr += Ar*Br
/*  mfmaIndex:69  */
s_waitcnt lgkmcnt(0)                               // lgkmcnt=0 vmcnt=-13wait for local write
// Skip force waitcnt0
s_barrier //
v_mfma_f64_16x16x4_f64 v[56+0:63+0], v[vgprValuB_X3_I0+8+0+0:vgprValuB_X3_I0+8+0+0+1], v[vgprValuA_X3_I0+0+0+0+2:vgprValuA_X3_I0+0+0+0+2+1], v[56:63]
 // Ci += Ai*Br
/*  mfmaIndex:70  */
_ds_load_b128 v[vgprValuA_X0_I0+0:vgprValuA_X0_I0+0+3], v[vgprLocalReadAddrA] offset:0 // L -> Reg lro=0 swapByteOffset=0 ti=64 vIdx=0 rIdx=0 oIdx=0 buffer=0 iui=0
v_mfma_f64_16x16x4_f64 v[16+0:23+0], v[vgprValuB_X3_I0+8+0+0+2:vgprValuB_X3_I0+8+0+0+2+1], v[220:221], v[16:23]
 // Cr += -Ai*Bi
/*  mfmaIndex:71  */
_ds_load_b128 v[vgprValuB_X0_I0+0:vgprValuB_X0_I0+0+3], v[vgprLocalReadAddrB] offset:0 // L -> Reg lro=0 swapByteOffset=0 ti=16 vIdx=0 rIdx=0 oIdx=0 buffer=0 iui=0
v_mfma_f64_16x16x4_f64 v[56+0:63+0], v[vgprValuB_X3_I0+8+0+0+2:vgprValuB_X3_I0+8+0+0+2+1], v[vgprValuA_X3_I0+0+0+0:vgprValuA_X3_I0+0+0+0+1], v[56:63]
 // Ci += Ar*Bi
/*  mfmaIndex:72  */
_ds_load_b128 v[vgprValuB_X0_I0+4:vgprValuB_X0_I0+4+3], v[vgprLocalReadAddrB] offset:256 // L -> Reg lro=0 swapByteOffset=0 ti=16 vIdx=1 rIdx=0 oIdx=0 buffer=0 iui=0
v_mfma_f64_16x16x4_f64 v[24+0:31+0], v[vgprValuB_X3_I0+12+0+0:vgprValuB_X3_I0+12+0+0+1], v[vgprValuA_X3_I0+0+0+0:vgprValuA_X3_I0+0+0+0+1], v[24:31]
 // Cr += Ar*Br
/*  mfmaIndex:73  */
_ds_load_b128 v[vgprValuB_X0_I0+8:vgprValuB_X0_I0+8+3], v[vgprLocalReadAddrB] offset:512 // L -> Reg lro=0 swapByteOffset=0 ti=16 vIdx=2 rIdx=0 oIdx=0 buffer=0 iui=0
v_mfma_f64_16x16x4_f64 v[64+0:71+0], v[vgprValuB_X3_I0+12+0+0:vgprValuB_X3_I0+12+0+0+1], v[vgprValuA_X3_I0+0+0+0+2:vgprValuA_X3_I0+0+0+0+2+1], v[64:71]
 // Ci += Ai*Br
/*  mfmaIndex:74  */
_ds_load_b128 v[vgprValuB_X0_I0+12:vgprValuB_X0_I0+12+3], v[vgprLocalReadAddrB] offset:768 // L -> Reg lro=0 swapByteOffset=0 ti=16 vIdx=3 rIdx=0 oIdx=0 buffer=0 iui=0
v_mfma_f64_16x16x4_f64 v[24+0:31+0], v[vgprValuB_X3_I0+12+0+0+2:vgprValuB_X3_I0+12+0+0+2+1], v[220:221], v[24:31]
 // Cr += -Ai*Bi
/*  mfmaIndex:75  */
_ds_load_b128 v[vgprValuB_X0_I0+16:vgprValuB_X0_I0+16+3], v[vgprLocalReadAddrB] offset:1024 // L -> Reg lro=0 swapByteOffset=0 ti=16 vIdx=4 rIdx=0 oIdx=0 buffer=0 iui=0
v_mfma_f64_16x16x4_f64 v[64+0:71+0], v[vgprValuB_X3_I0+12+0+0+2:vgprValuB_X3_I0+12+0+0+2+1], v[vgprValuA_X3_I0+0+0+0:vgprValuA_X3_I0+0+0+0+1], v[64:71]
 // Ci += Ar*Bi
/*  mfmaIndex:76  */
v_mfma_f64_16x16x4_f64 v[32+0:39+0], v[vgprValuB_X3_I0+16+0+0:vgprValuB_X3_I0+16+0+0+1], v[vgprValuA_X3_I0+0+0+0:vgprValuA_X3_I0+0+0+0+1], v[32:39]
 // Cr += Ar*Br
/*  mfmaIndex:77  */
v_mfma_f64_16x16x4_f64 v[72+0:79+0], v[vgprValuB_X3_I0+16+0+0:vgprValuB_X3_I0+16+0+0+1], v[vgprValuA_X3_I0+0+0+0+2:vgprValuA_X3_I0+0+0+0+2+1], v[72:79]
 // Ci += Ai*Br
/*  mfmaIndex:78  */
v_mfma_f64_16x16x4_f64 v[32+0:39+0], v[vgprValuB_X3_I0+16+0+0+2:vgprValuB_X3_I0+16+0+0+2+1], v[220:221], v[32:39]
 // Cr += -Ai*Bi
/*  mfmaIndex:79  */
v_mfma_f64_16x16x4_f64 v[72+0:79+0], v[vgprValuB_X3_I0+16+0+0+2:vgprValuB_X3_I0+16+0+0+2+1], v[vgprValuA_X3_I0+0+0+0:vgprValuA_X3_I0+0+0+0+1], v[72:79]
 // Ci += Ar*Bi


/******************************************/
/* Unrolled Loop - End 2/2 (final)        */
/******************************************/


/* closeLoop loopL finalLoop=1 tailLoop=0 */
s_sub_u32 s[sgprLoopCounterL], s[sgprLoopCounterL], 1 // dec counterL
s_cmp_eq_i32 s[sgprLoopCounterL], 0x2              // counterL==2
s_cbranch_scc0 LoopBeginL_1                        // restart LoopL
LoopEndL_evenexit_4: // unroll loop eveniter exit
s_branch LoopEndL_2                                // exit unroll loopL (and skip second exit code)
LoopEndL_oddexit_3: // unroll loop odditer exit

/* Select high bank of LDS */
LoopEndL_2:


/* Before NLL: Check VGPR.checkin for INT8 LW */


/******************************************/
/* Ord. NoGlobalLoadLoop - Begin                                      */
/******************************************/


	;; [unrolled: 1-line block ×3, first 2 shown]
/* iter 0 */

/*  grEndMfmaIndex:4, lwStartMfmaIndex:25, lwEndMfmaIndex:67  */
/*  numMfmaForLR:10, barrierMfmaIndex:69, LocalWritePerMfma:0.195 */
/*  mfmaIndex:0  */
s_waitcnt lgkmcnt(0)                               // lgkmcnt=0 vmcnt=-1wait for prior local read local write old=0, new=0 newLW=0 newLR=0
v_add_f64 v[220:221], -v[vgprValuA_X0_I0+0+0+0+2:vgprValuA_X0_I0+0+0+0+2+1], 0 // Ai=-Ai
v_mfma_f64_16x16x4_f64 v[0+0:7+0], v[vgprValuB_X0_I0+0+0+0:vgprValuB_X0_I0+0+0+0+1], v[vgprValuA_X0_I0+0+0+0:vgprValuA_X0_I0+0+0+0+1], v[0:7]
 // Cr += Ar*Br
/*  mfmaIndex:1  */
_ds_load_b128 v[vgprValuA_X1_I0+0:vgprValuA_X1_I0+0+3], v[vgprLocalReadAddrA] offset:64 // L -> Reg lro=4 swapByteOffset=0 ti=64 vIdx=0 rIdx=0 oIdx=0 buffer=1 iui=0

/* global read inc A loopL */
s_add_u32 s[sgprSrdA+0], s[sgprSrdA+0], s[sgprGlobalReadIncsA+0] // gra SRD += inc(lower)
s_addc_u32  s[sgprSrdA+1], s[sgprSrdA+1], 0        // gra SRD += inc(upper)
s_sub_u32 s[sgprShadowLimitA+0], s[sgprShadowLimitA+0], s[sgprGlobalReadIncsA+0] // limit -= inc)
v_mfma_f64_16x16x4_f64 v[40+0:47+0], v[vgprValuB_X0_I0+0+0+0:vgprValuB_X0_I0+0+0+0+1], v[vgprValuA_X0_I0+0+0+0+2:vgprValuA_X0_I0+0+0+0+2+1], v[40:47]
 // Ci += Ai*Br
/*  mfmaIndex:2  */
_ds_load_b128 v[vgprValuB_X1_I0+0:vgprValuB_X1_I0+0+3], v[vgprLocalReadAddrB] offset:5120 // L -> Reg lro=320 swapByteOffset=0 ti=16 vIdx=0 rIdx=0 oIdx=0 buffer=1 iui=0
s_subb_u32 s[sgprShadowLimitA+1], s[sgprShadowLimitA+1], 0 // limit -= inc)
s_cmp_eq_u32 s[sgprShadowLimitA+1], 0              // are we within 2^32?
s_cmov_b32 s[sgprSrdA+2], s[sgprShadowLimitA+0]    // Move shadow to real if we are within 2^32
v_mfma_f64_16x16x4_f64 v[0+0:7+0], v[vgprValuB_X0_I0+0+0+0+2:vgprValuB_X0_I0+0+0+0+2+1], v[220:221], v[0:7]
 // Cr += -Ai*Bi
/*  mfmaIndex:3  */
_ds_load_b128 v[vgprValuB_X1_I0+4:vgprValuB_X1_I0+4+3], v[vgprLocalReadAddrB] offset:5376 // L -> Reg lro=320 swapByteOffset=0 ti=16 vIdx=1 rIdx=0 oIdx=0 buffer=1 iui=0

/* global read inc B loopL */
s_add_u32 s[sgprSrdB+0], s[sgprSrdB+0], s[sgprGlobalReadIncsB+0] // gra SRD += inc(lower)
s_addc_u32  s[sgprSrdB+1], s[sgprSrdB+1], 0        // gra SRD += inc(upper)
s_sub_u32 s[sgprShadowLimitB+0], s[sgprShadowLimitB+0], s[sgprGlobalReadIncsB+0] // limit -= inc)
v_mfma_f64_16x16x4_f64 v[40+0:47+0], v[vgprValuB_X0_I0+0+0+0+2:vgprValuB_X0_I0+0+0+0+2+1], v[vgprValuA_X0_I0+0+0+0:vgprValuA_X0_I0+0+0+0+1], v[40:47]
 // Ci += Ar*Bi
/*  mfmaIndex:4  */
_ds_load_b128 v[vgprValuB_X1_I0+8:vgprValuB_X1_I0+8+3], v[vgprLocalReadAddrB] offset:5632 // L -> Reg lro=320 swapByteOffset=0 ti=16 vIdx=2 rIdx=0 oIdx=0 buffer=1 iui=0
s_subb_u32 s[sgprShadowLimitB+1], s[sgprShadowLimitB+1], 0 // limit -= inc)
s_cmp_eq_u32 s[sgprShadowLimitB+1], 0              // are we within 2^32?
s_cmov_b32 s[sgprSrdB+2], s[sgprShadowLimitB+0]    // Move shadow to real if we are within 2^32
v_mfma_f64_16x16x4_f64 v[8+0:15+0], v[vgprValuB_X0_I0+4+0+0:vgprValuB_X0_I0+4+0+0+1], v[vgprValuA_X0_I0+0+0+0:vgprValuA_X0_I0+0+0+0+1], v[8:15]
 // Cr += Ar*Br
/*  mfmaIndex:5  */
_ds_load_b128 v[vgprValuB_X1_I0+12:vgprValuB_X1_I0+12+3], v[vgprLocalReadAddrB] offset:5888 // L -> Reg lro=320 swapByteOffset=0 ti=16 vIdx=3 rIdx=0 oIdx=0 buffer=1 iui=0
v_mfma_f64_16x16x4_f64 v[48+0:55+0], v[vgprValuB_X0_I0+4+0+0:vgprValuB_X0_I0+4+0+0+1], v[vgprValuA_X0_I0+0+0+0+2:vgprValuA_X0_I0+0+0+0+2+1], v[48:55]
 // Ci += Ai*Br
/*  mfmaIndex:6  */
_ds_load_b128 v[vgprValuB_X1_I0+16:vgprValuB_X1_I0+16+3], v[vgprLocalReadAddrB] offset:6144 // L -> Reg lro=320 swapByteOffset=0 ti=16 vIdx=4 rIdx=0 oIdx=0 buffer=1 iui=0
/* localReadsVacancy: latencyLeft 1 */
v_mfma_f64_16x16x4_f64 v[8+0:15+0], v[vgprValuB_X0_I0+4+0+0+2:vgprValuB_X0_I0+4+0+0+2+1], v[220:221], v[8:15]
 // Cr += -Ai*Bi
/*  mfmaIndex:7  */
/* localReadsVacancy: latencyLeft 5 */
_ds_load_b128 v[vgprValuA_X2_I0+0:vgprValuA_X2_I0+0+3], v[vgprLocalReadAddrA] offset:128 // L -> Reg lro=8 swapByteOffset=0 ti=64 vIdx=0 rIdx=0 oIdx=0 buffer=2 iui=0
v_mfma_f64_16x16x4_f64 v[48+0:55+0], v[vgprValuB_X0_I0+4+0+0+2:vgprValuB_X0_I0+4+0+0+2+1], v[vgprValuA_X0_I0+0+0+0:vgprValuA_X0_I0+0+0+0+1], v[48:55]
 // Ci += Ar*Bi
/*  mfmaIndex:8  */
/* localReadsVacancy: latencyLeft 5 */
_ds_load_b128 v[vgprValuB_X2_I0+0:vgprValuB_X2_I0+0+3], v[vgprLocalReadAddrB] offset:10240 // L -> Reg lro=640 swapByteOffset=0 ti=16 vIdx=0 rIdx=0 oIdx=0 buffer=2 iui=0
v_mfma_f64_16x16x4_f64 v[16+0:23+0], v[vgprValuB_X0_I0+8+0+0:vgprValuB_X0_I0+8+0+0+1], v[vgprValuA_X0_I0+0+0+0:vgprValuA_X0_I0+0+0+0+1], v[16:23]
 // Cr += Ar*Br
/*  mfmaIndex:9  */
/* localReadsVacancy: latencyLeft 5 */
_ds_load_b128 v[vgprValuB_X2_I0+4:vgprValuB_X2_I0+4+3], v[vgprLocalReadAddrB] offset:10496 // L -> Reg lro=640 swapByteOffset=0 ti=16 vIdx=1 rIdx=0 oIdx=0 buffer=2 iui=0
v_mfma_f64_16x16x4_f64 v[56+0:63+0], v[vgprValuB_X0_I0+8+0+0:vgprValuB_X0_I0+8+0+0+1], v[vgprValuA_X0_I0+0+0+0+2:vgprValuA_X0_I0+0+0+0+2+1], v[56:63]
 // Ci += Ai*Br
/*  mfmaIndex:10  */
/* localReadsVacancy: latencyLeft 5 */
_ds_load_b128 v[vgprValuB_X2_I0+8:vgprValuB_X2_I0+8+3], v[vgprLocalReadAddrB] offset:10752 // L -> Reg lro=640 swapByteOffset=0 ti=16 vIdx=2 rIdx=0 oIdx=0 buffer=2 iui=0
v_mfma_f64_16x16x4_f64 v[16+0:23+0], v[vgprValuB_X0_I0+8+0+0+2:vgprValuB_X0_I0+8+0+0+2+1], v[220:221], v[16:23]
 // Cr += -Ai*Bi
/*  mfmaIndex:11  */
/* localReadsVacancy: latencyLeft 5 */
_ds_load_b128 v[vgprValuB_X2_I0+12:vgprValuB_X2_I0+12+3], v[vgprLocalReadAddrB] offset:11008 // L -> Reg lro=640 swapByteOffset=0 ti=16 vIdx=3 rIdx=0 oIdx=0 buffer=2 iui=0
v_mfma_f64_16x16x4_f64 v[56+0:63+0], v[vgprValuB_X0_I0+8+0+0+2:vgprValuB_X0_I0+8+0+0+2+1], v[vgprValuA_X0_I0+0+0+0:vgprValuA_X0_I0+0+0+0+1], v[56:63]
 // Ci += Ar*Bi
/*  mfmaIndex:12  */
/* localReadsVacancy: latencyLeft 5 */
_ds_load_b128 v[vgprValuB_X2_I0+16:vgprValuB_X2_I0+16+3], v[vgprLocalReadAddrB] offset:11264 // L -> Reg lro=640 swapByteOffset=0 ti=16 vIdx=4 rIdx=0 oIdx=0 buffer=2 iui=0
v_mfma_f64_16x16x4_f64 v[24+0:31+0], v[vgprValuB_X0_I0+12+0+0:vgprValuB_X0_I0+12+0+0+1], v[vgprValuA_X0_I0+0+0+0:vgprValuA_X0_I0+0+0+0+1], v[24:31]
 // Cr += Ar*Br
/*  mfmaIndex:13  */
/* localReadsVacancy: latencyLeft 5 */
_ds_load_b128 v[vgprValuA_X3_I0+0:vgprValuA_X3_I0+0+3], v[vgprLocalReadAddrA] offset:192 // L -> Reg lro=12 swapByteOffset=0 ti=64 vIdx=0 rIdx=0 oIdx=0 buffer=3 iui=0
v_mfma_f64_16x16x4_f64 v[64+0:71+0], v[vgprValuB_X0_I0+12+0+0:vgprValuB_X0_I0+12+0+0+1], v[vgprValuA_X0_I0+0+0+0+2:vgprValuA_X0_I0+0+0+0+2+1], v[64:71]
 // Ci += Ai*Br
/*  mfmaIndex:14  */
/* localReadsVacancy: latencyLeft 5 */
_ds_load_b128 v[vgprValuB_X3_I0+0:vgprValuB_X3_I0+0+3], v[vgprLocalReadAddrB] offset:15360 // L -> Reg lro=960 swapByteOffset=0 ti=16 vIdx=0 rIdx=0 oIdx=0 buffer=3 iui=0
v_mfma_f64_16x16x4_f64 v[24+0:31+0], v[vgprValuB_X0_I0+12+0+0+2:vgprValuB_X0_I0+12+0+0+2+1], v[220:221], v[24:31]
 // Cr += -Ai*Bi
/*  mfmaIndex:15  */
/* localReadsVacancy: latencyLeft 5 */
_ds_load_b128 v[vgprValuB_X3_I0+4:vgprValuB_X3_I0+4+3], v[vgprLocalReadAddrB] offset:15616 // L -> Reg lro=960 swapByteOffset=0 ti=16 vIdx=1 rIdx=0 oIdx=0 buffer=3 iui=0
v_mfma_f64_16x16x4_f64 v[64+0:71+0], v[vgprValuB_X0_I0+12+0+0+2:vgprValuB_X0_I0+12+0+0+2+1], v[vgprValuA_X0_I0+0+0+0:vgprValuA_X0_I0+0+0+0+1], v[64:71]
 // Ci += Ar*Bi
/*  mfmaIndex:16  */
/* localReadsVacancy: latencyLeft 5 */
_ds_load_b128 v[vgprValuB_X3_I0+8:vgprValuB_X3_I0+8+3], v[vgprLocalReadAddrB] offset:15872 // L -> Reg lro=960 swapByteOffset=0 ti=16 vIdx=2 rIdx=0 oIdx=0 buffer=3 iui=0
v_mfma_f64_16x16x4_f64 v[32+0:39+0], v[vgprValuB_X0_I0+16+0+0:vgprValuB_X0_I0+16+0+0+1], v[vgprValuA_X0_I0+0+0+0:vgprValuA_X0_I0+0+0+0+1], v[32:39]
 // Cr += Ar*Br
/*  mfmaIndex:17  */
/* localReadsVacancy: latencyLeft 5 */
_ds_load_b128 v[vgprValuB_X3_I0+12:vgprValuB_X3_I0+12+3], v[vgprLocalReadAddrB] offset:16128 // L -> Reg lro=960 swapByteOffset=0 ti=16 vIdx=3 rIdx=0 oIdx=0 buffer=3 iui=0
v_mfma_f64_16x16x4_f64 v[72+0:79+0], v[vgprValuB_X0_I0+16+0+0:vgprValuB_X0_I0+16+0+0+1], v[vgprValuA_X0_I0+0+0+0+2:vgprValuA_X0_I0+0+0+0+2+1], v[72:79]
 // Ci += Ai*Br
/*  mfmaIndex:18  */
/* localReadsVacancy: latencyLeft 5 */
_ds_load_b128 v[vgprValuB_X3_I0+16:vgprValuB_X3_I0+16+3], v[vgprLocalReadAddrB] offset:16384 // L -> Reg lro=960 swapByteOffset=0 ti=16 vIdx=4 rIdx=0 oIdx=0 buffer=3 iui=0
v_mfma_f64_16x16x4_f64 v[32+0:39+0], v[vgprValuB_X0_I0+16+0+0+2:vgprValuB_X0_I0+16+0+0+2+1], v[220:221], v[32:39]
 // Cr += -Ai*Bi
/*  mfmaIndex:19  */
/* localReadsVacancy: latencyLeft 5 */
v_mfma_f64_16x16x4_f64 v[72+0:79+0], v[vgprValuB_X0_I0+16+0+0+2:vgprValuB_X0_I0+16+0+0+2+1], v[vgprValuA_X0_I0+0+0+0:vgprValuA_X0_I0+0+0+0+1], v[72:79]
 // Ci += Ar*Bi
/* numPrefetchIter=0 */
/* dataAtIterA=-1 numReadsIterA=1 skipReadsIterA=1 readsPerIterA=1 */
/* dataAtIterB=-1 numReadsIterB=1 skipReadsIterB=1 readsPerIterB=5 */


/* iter 1 */

/*  grEndMfmaIndex:4, lwStartMfmaIndex:25, lwEndMfmaIndex:67  */
/*  numMfmaForLR:10, barrierMfmaIndex:69, LocalWritePerMfma:0.195 */
/*  mfmaIndex:20  */
/* localReadsVacancy: latencyLeft 5 */
s_waitcnt lgkmcnt(12)                              // lgkmcnt=0 vmcnt=-1wait for prior local read local write old=6, new=6 newLW=0 newLR=0
v_add_f64 v[220:221], -v[vgprValuA_X1_I0+0+0+0+2:vgprValuA_X1_I0+0+0+0+2+1], 0 // Ai=-Ai
v_mfma_f64_16x16x4_f64 v[0+0:7+0], v[vgprValuB_X1_I0+0+0+0:vgprValuB_X1_I0+0+0+0+1], v[vgprValuA_X1_I0+0+0+0:vgprValuA_X1_I0+0+0+0+1], v[0:7]
 // Cr += Ar*Br
/*  mfmaIndex:21  */
/* localReadsVacancy: latencyLeft 5 */
v_mfma_f64_16x16x4_f64 v[40+0:47+0], v[vgprValuB_X1_I0+0+0+0:vgprValuB_X1_I0+0+0+0+1], v[vgprValuA_X1_I0+0+0+0+2:vgprValuA_X1_I0+0+0+0+2+1], v[40:47]
 // Ci += Ai*Br
/*  mfmaIndex:22  */
/* localReadsVacancy: latencyLeft 5 */
v_mfma_f64_16x16x4_f64 v[0+0:7+0], v[vgprValuB_X1_I0+0+0+0+2:vgprValuB_X1_I0+0+0+0+2+1], v[220:221], v[0:7]
 // Cr += -Ai*Bi
/*  mfmaIndex:23  */
/* localReadsVacancy: latencyLeft 5 */
v_mfma_f64_16x16x4_f64 v[40+0:47+0], v[vgprValuB_X1_I0+0+0+0+2:vgprValuB_X1_I0+0+0+0+2+1], v[vgprValuA_X1_I0+0+0+0:vgprValuA_X1_I0+0+0+0+1], v[40:47]
 // Ci += Ar*Bi
/*  mfmaIndex:24  */
/* localReadsVacancy: latencyLeft 5 */
/* 1 LDS buffer: read-sync-write */
s_waitcnt lgkmcnt(0)                               // 
s_barrier                                          // 
v_mfma_f64_16x16x4_f64 v[8+0:15+0], v[vgprValuB_X1_I0+4+0+0:vgprValuB_X1_I0+4+0+0+1], v[vgprValuA_X1_I0+0+0+0:vgprValuA_X1_I0+0+0+0+1], v[8:15]
 // Cr += Ar*Br
/*  mfmaIndex:25  */
/* sched write - iter 1 writesPerItem=1 */
s_waitcnt vmcnt(0)                                 // lgkmcnt=-1 vmcnt=0wait for global read before writing to local
_ds_store_b128 v[vgprLocalWriteAddrA], v[vgprG2LA+0:vgprG2LA+0+3] offset:0 // lwoA_0_0_0_0 = (0*LSCA)*(MT0I+PAD) + (0*LSPA) = 0
v_mfma_f64_16x16x4_f64 v[48+0:55+0], v[vgprValuB_X1_I0+4+0+0:vgprValuB_X1_I0+4+0+0+1], v[vgprValuA_X1_I0+0+0+0+2:vgprValuA_X1_I0+0+0+0+2+1], v[48:55]
 // Ci += Ai*Br
/*  mfmaIndex:26  */
v_mfma_f64_16x16x4_f64 v[8+0:15+0], v[vgprValuB_X1_I0+4+0+0+2:vgprValuB_X1_I0+4+0+0+2+1], v[220:221], v[8:15]
 // Cr += -Ai*Bi
/*  mfmaIndex:27  */
v_mfma_f64_16x16x4_f64 v[48+0:55+0], v[vgprValuB_X1_I0+4+0+0+2:vgprValuB_X1_I0+4+0+0+2+1], v[vgprValuA_X1_I0+0+0+0:vgprValuA_X1_I0+0+0+0+1], v[48:55]
 // Ci += Ar*Bi
/*  mfmaIndex:28  */
v_mfma_f64_16x16x4_f64 v[16+0:23+0], v[vgprValuB_X1_I0+8+0+0:vgprValuB_X1_I0+8+0+0+1], v[vgprValuA_X1_I0+0+0+0:vgprValuA_X1_I0+0+0+0+1], v[16:23]
 // Cr += Ar*Br
/*  mfmaIndex:29  */
v_mfma_f64_16x16x4_f64 v[56+0:63+0], v[vgprValuB_X1_I0+8+0+0:vgprValuB_X1_I0+8+0+0+1], v[vgprValuA_X1_I0+0+0+0+2:vgprValuA_X1_I0+0+0+0+2+1], v[56:63]
 // Ci += Ai*Br
/*  mfmaIndex:30  */
/* sched write - iter 1 writesPerItem=1 */
s_waitcnt vmcnt(0)                                 // lgkmcnt=-1 vmcnt=0wait for global read before writing to local
_ds_store_b128 v[vgprLocalWriteAddrA], v[vgprG2LA+4:vgprG2LA+4+3] offset:4608 // lwoA_0_0_1_0 = (0*LSCA)*(MT0I+PAD) + (1*LSPA) = 4608
v_mfma_f64_16x16x4_f64 v[16+0:23+0], v[vgprValuB_X1_I0+8+0+0+2:vgprValuB_X1_I0+8+0+0+2+1], v[220:221], v[16:23]
 // Cr += -Ai*Bi
/*  mfmaIndex:31  */
v_mfma_f64_16x16x4_f64 v[56+0:63+0], v[vgprValuB_X1_I0+8+0+0+2:vgprValuB_X1_I0+8+0+0+2+1], v[vgprValuA_X1_I0+0+0+0:vgprValuA_X1_I0+0+0+0+1], v[56:63]
 // Ci += Ar*Bi
/*  mfmaIndex:32  */
v_mfma_f64_16x16x4_f64 v[24+0:31+0], v[vgprValuB_X1_I0+12+0+0:vgprValuB_X1_I0+12+0+0+1], v[vgprValuA_X1_I0+0+0+0:vgprValuA_X1_I0+0+0+0+1], v[24:31]
 // Cr += Ar*Br
/*  mfmaIndex:33  */
v_mfma_f64_16x16x4_f64 v[64+0:71+0], v[vgprValuB_X1_I0+12+0+0:vgprValuB_X1_I0+12+0+0+1], v[vgprValuA_X1_I0+0+0+0+2:vgprValuA_X1_I0+0+0+0+2+1], v[64:71]
 // Ci += Ai*Br
/*  mfmaIndex:34  */
v_mfma_f64_16x16x4_f64 v[24+0:31+0], v[vgprValuB_X1_I0+12+0+0+2:vgprValuB_X1_I0+12+0+0+2+1], v[220:221], v[24:31]
 // Cr += -Ai*Bi
/*  mfmaIndex:35  */
/* sched write - iter 1 writesPerItem=1 */
s_waitcnt vmcnt(0)                                 // lgkmcnt=-1 vmcnt=0wait for global read before writing to local
_ds_store_b128 v[vgprLocalWriteAddrA], v[vgprG2LA+8:vgprG2LA+8+3] offset:9216 // lwoA_0_0_2_0 = (0*LSCA)*(MT0I+PAD) + (2*LSPA) = 9216
v_mfma_f64_16x16x4_f64 v[64+0:71+0], v[vgprValuB_X1_I0+12+0+0+2:vgprValuB_X1_I0+12+0+0+2+1], v[vgprValuA_X1_I0+0+0+0:vgprValuA_X1_I0+0+0+0+1], v[64:71]
 // Ci += Ar*Bi
/*  mfmaIndex:36  */
v_mfma_f64_16x16x4_f64 v[32+0:39+0], v[vgprValuB_X1_I0+16+0+0:vgprValuB_X1_I0+16+0+0+1], v[vgprValuA_X1_I0+0+0+0:vgprValuA_X1_I0+0+0+0+1], v[32:39]
 // Cr += Ar*Br
/*  mfmaIndex:37  */
v_mfma_f64_16x16x4_f64 v[72+0:79+0], v[vgprValuB_X1_I0+16+0+0:vgprValuB_X1_I0+16+0+0+1], v[vgprValuA_X1_I0+0+0+0+2:vgprValuA_X1_I0+0+0+0+2+1], v[72:79]
 // Ci += Ai*Br
/*  mfmaIndex:38  */
v_mfma_f64_16x16x4_f64 v[32+0:39+0], v[vgprValuB_X1_I0+16+0+0+2:vgprValuB_X1_I0+16+0+0+2+1], v[220:221], v[32:39]
 // Cr += -Ai*Bi
/*  mfmaIndex:39  */
v_mfma_f64_16x16x4_f64 v[72+0:79+0], v[vgprValuB_X1_I0+16+0+0+2:vgprValuB_X1_I0+16+0+0+2+1], v[vgprValuA_X1_I0+0+0+0:vgprValuA_X1_I0+0+0+0+1], v[72:79]
 // Ci += Ar*Bi
/* numPrefetchIter=0 */
/* dataAtIterA=0 numReadsIterA=2 skipReadsIterA=1 readsPerIterA=1 */
/* dataAtIterB=0 numReadsIterB=2 skipReadsIterB=1 readsPerIterB=5 */


/* iter 2 (reset local read pointers iteration)  (swap local read pointers iteration)  */

/*  grEndMfmaIndex:4, lwStartMfmaIndex:25, lwEndMfmaIndex:67  */
/*  numMfmaForLR:10, barrierMfmaIndex:69, LocalWritePerMfma:0.195 */
/*  mfmaIndex:40  */
/* sched write - iter 2 writesPerItem=1 */
s_waitcnt vmcnt(0)                                 // lgkmcnt=-1 vmcnt=0wait for global read before writing to local
_ds_store_b128 v[vgprLocalWriteAddrA], v[vgprG2LA+12:vgprG2LA+12+3] offset:13824 // lwoA_0_0_3_0 = (0*LSCA)*(MT0I+PAD) + (3*LSPA) = 13824
v_add_f64 v[220:221], -v[vgprValuA_X2_I0+0+0+0+2:vgprValuA_X2_I0+0+0+0+2+1], 0 // Ai=-Ai
v_mfma_f64_16x16x4_f64 v[0+0:7+0], v[vgprValuB_X2_I0+0+0+0:vgprValuB_X2_I0+0+0+0+1], v[vgprValuA_X2_I0+0+0+0:vgprValuA_X2_I0+0+0+0+1], v[0:7]
 // Cr += Ar*Br
/*  mfmaIndex:41  */
v_mfma_f64_16x16x4_f64 v[40+0:47+0], v[vgprValuB_X2_I0+0+0+0:vgprValuB_X2_I0+0+0+0+1], v[vgprValuA_X2_I0+0+0+0+2:vgprValuA_X2_I0+0+0+0+2+1], v[40:47]
 // Ci += Ai*Br
/*  mfmaIndex:42  */
v_mfma_f64_16x16x4_f64 v[0+0:7+0], v[vgprValuB_X2_I0+0+0+0+2:vgprValuB_X2_I0+0+0+0+2+1], v[220:221], v[0:7]
 // Cr += -Ai*Bi
/*  mfmaIndex:43  */
v_mfma_f64_16x16x4_f64 v[40+0:47+0], v[vgprValuB_X2_I0+0+0+0+2:vgprValuB_X2_I0+0+0+0+2+1], v[vgprValuA_X2_I0+0+0+0:vgprValuA_X2_I0+0+0+0+1], v[40:47]
 // Ci += Ar*Bi
/*  mfmaIndex:44  */
v_mfma_f64_16x16x4_f64 v[8+0:15+0], v[vgprValuB_X2_I0+4+0+0:vgprValuB_X2_I0+4+0+0+1], v[vgprValuA_X2_I0+0+0+0:vgprValuA_X2_I0+0+0+0+1], v[8:15]
 // Cr += Ar*Br
/*  mfmaIndex:45  */
/* sched write - iter 2 writesPerItem=1 */
s_waitcnt vmcnt(0)                                 // lgkmcnt=-1 vmcnt=0wait for global read before writing to local
_ds_store_b128 v[vgprLocalWriteAddrB], v[vgprG2LB+0:vgprG2LB+0+3] offset:0 // lwoB_0_0_0_0 = (0*LSCB) + (0*LSPB)(*MT1J+PAD) = 0
v_mfma_f64_16x16x4_f64 v[48+0:55+0], v[vgprValuB_X2_I0+4+0+0:vgprValuB_X2_I0+4+0+0+1], v[vgprValuA_X2_I0+0+0+0+2:vgprValuA_X2_I0+0+0+0+2+1], v[48:55]
 // Ci += Ai*Br
/*  mfmaIndex:46  */
v_mfma_f64_16x16x4_f64 v[8+0:15+0], v[vgprValuB_X2_I0+4+0+0+2:vgprValuB_X2_I0+4+0+0+2+1], v[220:221], v[8:15]
 // Cr += -Ai*Bi
/*  mfmaIndex:47  */
v_mfma_f64_16x16x4_f64 v[48+0:55+0], v[vgprValuB_X2_I0+4+0+0+2:vgprValuB_X2_I0+4+0+0+2+1], v[vgprValuA_X2_I0+0+0+0:vgprValuA_X2_I0+0+0+0+1], v[48:55]
 // Ci += Ar*Bi
/*  mfmaIndex:48  */
v_mfma_f64_16x16x4_f64 v[16+0:23+0], v[vgprValuB_X2_I0+8+0+0:vgprValuB_X2_I0+8+0+0+1], v[vgprValuA_X2_I0+0+0+0:vgprValuA_X2_I0+0+0+0+1], v[16:23]
 // Cr += Ar*Br
/*  mfmaIndex:49  */
v_mfma_f64_16x16x4_f64 v[56+0:63+0], v[vgprValuB_X2_I0+8+0+0:vgprValuB_X2_I0+8+0+0+1], v[vgprValuA_X2_I0+0+0+0+2:vgprValuA_X2_I0+0+0+0+2+1], v[56:63]
 // Ci += Ai*Br
/*  mfmaIndex:50  */
/* sched write - iter 2 writesPerItem=1 */
s_waitcnt vmcnt(0)                                 // lgkmcnt=-1 vmcnt=0wait for global read before writing to local
_ds_store_b128 v[vgprLocalWriteAddrB], v[vgprG2LB+4:vgprG2LB+4+3] offset:256 // lwoB_1_0_0_0 = (1*LSCB) + (0*LSPB)(*MT1J+PAD) = 256
v_mfma_f64_16x16x4_f64 v[16+0:23+0], v[vgprValuB_X2_I0+8+0+0+2:vgprValuB_X2_I0+8+0+0+2+1], v[220:221], v[16:23]
 // Cr += -Ai*Bi
/*  mfmaIndex:51  */
v_mfma_f64_16x16x4_f64 v[56+0:63+0], v[vgprValuB_X2_I0+8+0+0+2:vgprValuB_X2_I0+8+0+0+2+1], v[vgprValuA_X2_I0+0+0+0:vgprValuA_X2_I0+0+0+0+1], v[56:63]
 // Ci += Ar*Bi
/*  mfmaIndex:52  */
v_mfma_f64_16x16x4_f64 v[24+0:31+0], v[vgprValuB_X2_I0+12+0+0:vgprValuB_X2_I0+12+0+0+1], v[vgprValuA_X2_I0+0+0+0:vgprValuA_X2_I0+0+0+0+1], v[24:31]
 // Cr += Ar*Br
/*  mfmaIndex:53  */
v_mfma_f64_16x16x4_f64 v[64+0:71+0], v[vgprValuB_X2_I0+12+0+0:vgprValuB_X2_I0+12+0+0+1], v[vgprValuA_X2_I0+0+0+0+2:vgprValuA_X2_I0+0+0+0+2+1], v[64:71]
 // Ci += Ai*Br
/*  mfmaIndex:54  */
v_mfma_f64_16x16x4_f64 v[24+0:31+0], v[vgprValuB_X2_I0+12+0+0+2:vgprValuB_X2_I0+12+0+0+2+1], v[220:221], v[24:31]
 // Cr += -Ai*Bi
/*  mfmaIndex:55  */
/* sched write - iter 2 writesPerItem=1 */
s_waitcnt vmcnt(0)                                 // lgkmcnt=-1 vmcnt=0wait for global read before writing to local
_ds_store_b128 v[vgprLocalWriteAddrB], v[vgprG2LB+8:vgprG2LB+8+3] offset:512 // lwoB_2_0_0_0 = (2*LSCB) + (0*LSPB)(*MT1J+PAD) = 512
v_mfma_f64_16x16x4_f64 v[64+0:71+0], v[vgprValuB_X2_I0+12+0+0+2:vgprValuB_X2_I0+12+0+0+2+1], v[vgprValuA_X2_I0+0+0+0:vgprValuA_X2_I0+0+0+0+1], v[64:71]
 // Ci += Ar*Bi
/*  mfmaIndex:56  */
v_mfma_f64_16x16x4_f64 v[32+0:39+0], v[vgprValuB_X2_I0+16+0+0:vgprValuB_X2_I0+16+0+0+1], v[vgprValuA_X2_I0+0+0+0:vgprValuA_X2_I0+0+0+0+1], v[32:39]
 // Cr += Ar*Br
/*  mfmaIndex:57  */
v_mfma_f64_16x16x4_f64 v[72+0:79+0], v[vgprValuB_X2_I0+16+0+0:vgprValuB_X2_I0+16+0+0+1], v[vgprValuA_X2_I0+0+0+0+2:vgprValuA_X2_I0+0+0+0+2+1], v[72:79]
 // Ci += Ai*Br
/*  mfmaIndex:58  */
v_mfma_f64_16x16x4_f64 v[32+0:39+0], v[vgprValuB_X2_I0+16+0+0+2:vgprValuB_X2_I0+16+0+0+2+1], v[220:221], v[32:39]
 // Cr += -Ai*Bi
/*  mfmaIndex:59  */

/* local read swap offsets a */

/* local read swap offsets b */

/* local read init pointers a */

/* localReadInitPointers */

/* local read init pointers b */

/* localReadInitPointers */
v_mfma_f64_16x16x4_f64 v[72+0:79+0], v[vgprValuB_X2_I0+16+0+0+2:vgprValuB_X2_I0+16+0+0+2+1], v[vgprValuA_X2_I0+0+0+0:vgprValuA_X2_I0+0+0+0+1], v[72:79]
 // Ci += Ar*Bi


/* iter 3 (swap and reset local write pointers iteration)  */

/*  grEndMfmaIndex:4, lwStartMfmaIndex:25, lwEndMfmaIndex:67  */
/*  numMfmaForLR:10, barrierMfmaIndex:69, LocalWritePerMfma:0.195 */
/*  mfmaIndex:60  */
/* sched write - iter 3 writesPerItem=1 */
s_waitcnt vmcnt(0)                                 // lgkmcnt=-1 vmcnt=0wait for global read before writing to local
_ds_store_b128 v[vgprLocalWriteAddrB], v[vgprG2LB+12:vgprG2LB+12+3] offset:768 // lwoB_3_0_0_0 = (3*LSCB) + (0*LSPB)(*MT1J+PAD) = 768
v_add_f64 v[220:221], -v[vgprValuA_X3_I0+0+0+0+2:vgprValuA_X3_I0+0+0+0+2+1], 0 // Ai=-Ai
v_mfma_f64_16x16x4_f64 v[0+0:7+0], v[vgprValuB_X3_I0+0+0+0:vgprValuB_X3_I0+0+0+0+1], v[vgprValuA_X3_I0+0+0+0:vgprValuA_X3_I0+0+0+0+1], v[0:7]
 // Cr += Ar*Br
/*  mfmaIndex:61  */
v_mfma_f64_16x16x4_f64 v[40+0:47+0], v[vgprValuB_X3_I0+0+0+0:vgprValuB_X3_I0+0+0+0+1], v[vgprValuA_X3_I0+0+0+0+2:vgprValuA_X3_I0+0+0+0+2+1], v[40:47]
 // Ci += Ai*Br
/*  mfmaIndex:62  */
v_mfma_f64_16x16x4_f64 v[0+0:7+0], v[vgprValuB_X3_I0+0+0+0+2:vgprValuB_X3_I0+0+0+0+2+1], v[220:221], v[0:7]
 // Cr += -Ai*Bi
/*  mfmaIndex:63  */
v_mfma_f64_16x16x4_f64 v[40+0:47+0], v[vgprValuB_X3_I0+0+0+0+2:vgprValuB_X3_I0+0+0+0+2+1], v[vgprValuA_X3_I0+0+0+0:vgprValuA_X3_I0+0+0+0+1], v[40:47]
 // Ci += Ar*Bi
/*  mfmaIndex:64  */
v_mfma_f64_16x16x4_f64 v[8+0:15+0], v[vgprValuB_X3_I0+4+0+0:vgprValuB_X3_I0+4+0+0+1], v[vgprValuA_X3_I0+0+0+0:vgprValuA_X3_I0+0+0+0+1], v[8:15]
 // Cr += Ar*Br
/*  mfmaIndex:65  */
v_mfma_f64_16x16x4_f64 v[48+0:55+0], v[vgprValuB_X3_I0+4+0+0:vgprValuB_X3_I0+4+0+0+1], v[vgprValuA_X3_I0+0+0+0+2:vgprValuA_X3_I0+0+0+0+2+1], v[48:55]
 // Ci += Ai*Br
/*  mfmaIndex:66  */
/* sched write - iter 3 writesPerItem=1 */
s_waitcnt vmcnt(0)                                 // lgkmcnt=-1 vmcnt=0wait for global read before writing to local
_ds_store_b128 v[vgprLocalWriteAddrB], v[vgprG2LB+16:vgprG2LB+16+3] offset:1024 // lwoB_4_0_0_0 = (4*LSCB) + (0*LSPB)(*MT1J+PAD) = 1024
v_mfma_f64_16x16x4_f64 v[8+0:15+0], v[vgprValuB_X3_I0+4+0+0+2:vgprValuB_X3_I0+4+0+0+2+1], v[220:221], v[8:15]
 // Cr += -Ai*Bi
/*  mfmaIndex:67  */

/* local write swap offsets a */

/* local write swap offsets b */
v_mfma_f64_16x16x4_f64 v[48+0:55+0], v[vgprValuB_X3_I0+4+0+0+2:vgprValuB_X3_I0+4+0+0+2+1], v[vgprValuA_X3_I0+0+0+0:vgprValuA_X3_I0+0+0+0+1], v[48:55]
 // Ci += Ar*Bi
/*  mfmaIndex:68  */
v_mfma_f64_16x16x4_f64 v[16+0:23+0], v[vgprValuB_X3_I0+8+0+0:vgprValuB_X3_I0+8+0+0+1], v[vgprValuA_X3_I0+0+0+0:vgprValuA_X3_I0+0+0+0+1], v[16:23]
 // Cr += Ar*Br
/*  mfmaIndex:69  */
s_waitcnt lgkmcnt(0)                               // lgkmcnt=0 vmcnt=-13wait for local write
// Skip force waitcnt0
s_barrier //
v_mfma_f64_16x16x4_f64 v[56+0:63+0], v[vgprValuB_X3_I0+8+0+0:vgprValuB_X3_I0+8+0+0+1], v[vgprValuA_X3_I0+0+0+0+2:vgprValuA_X3_I0+0+0+0+2+1], v[56:63]
 // Ci += Ai*Br
/*  mfmaIndex:70  */
_ds_load_b128 v[vgprValuA_X0_I0+0:vgprValuA_X0_I0+0+3], v[vgprLocalReadAddrA] offset:0 // L -> Reg lro=0 swapByteOffset=0 ti=64 vIdx=0 rIdx=0 oIdx=0 buffer=0 iui=0
v_mfma_f64_16x16x4_f64 v[16+0:23+0], v[vgprValuB_X3_I0+8+0+0+2:vgprValuB_X3_I0+8+0+0+2+1], v[220:221], v[16:23]
 // Cr += -Ai*Bi
/*  mfmaIndex:71  */
_ds_load_b128 v[vgprValuB_X0_I0+0:vgprValuB_X0_I0+0+3], v[vgprLocalReadAddrB] offset:0 // L -> Reg lro=0 swapByteOffset=0 ti=16 vIdx=0 rIdx=0 oIdx=0 buffer=0 iui=0
v_mfma_f64_16x16x4_f64 v[56+0:63+0], v[vgprValuB_X3_I0+8+0+0+2:vgprValuB_X3_I0+8+0+0+2+1], v[vgprValuA_X3_I0+0+0+0:vgprValuA_X3_I0+0+0+0+1], v[56:63]
 // Ci += Ar*Bi
/*  mfmaIndex:72  */
_ds_load_b128 v[vgprValuB_X0_I0+4:vgprValuB_X0_I0+4+3], v[vgprLocalReadAddrB] offset:256 // L -> Reg lro=0 swapByteOffset=0 ti=16 vIdx=1 rIdx=0 oIdx=0 buffer=0 iui=0
v_mfma_f64_16x16x4_f64 v[24+0:31+0], v[vgprValuB_X3_I0+12+0+0:vgprValuB_X3_I0+12+0+0+1], v[vgprValuA_X3_I0+0+0+0:vgprValuA_X3_I0+0+0+0+1], v[24:31]
 // Cr += Ar*Br
/*  mfmaIndex:73  */
_ds_load_b128 v[vgprValuB_X0_I0+8:vgprValuB_X0_I0+8+3], v[vgprLocalReadAddrB] offset:512 // L -> Reg lro=0 swapByteOffset=0 ti=16 vIdx=2 rIdx=0 oIdx=0 buffer=0 iui=0
v_mfma_f64_16x16x4_f64 v[64+0:71+0], v[vgprValuB_X3_I0+12+0+0:vgprValuB_X3_I0+12+0+0+1], v[vgprValuA_X3_I0+0+0+0+2:vgprValuA_X3_I0+0+0+0+2+1], v[64:71]
 // Ci += Ai*Br
/*  mfmaIndex:74  */
_ds_load_b128 v[vgprValuB_X0_I0+12:vgprValuB_X0_I0+12+3], v[vgprLocalReadAddrB] offset:768 // L -> Reg lro=0 swapByteOffset=0 ti=16 vIdx=3 rIdx=0 oIdx=0 buffer=0 iui=0
v_mfma_f64_16x16x4_f64 v[24+0:31+0], v[vgprValuB_X3_I0+12+0+0+2:vgprValuB_X3_I0+12+0+0+2+1], v[220:221], v[24:31]
 // Cr += -Ai*Bi
/*  mfmaIndex:75  */
_ds_load_b128 v[vgprValuB_X0_I0+16:vgprValuB_X0_I0+16+3], v[vgprLocalReadAddrB] offset:1024 // L -> Reg lro=0 swapByteOffset=0 ti=16 vIdx=4 rIdx=0 oIdx=0 buffer=0 iui=0
v_mfma_f64_16x16x4_f64 v[64+0:71+0], v[vgprValuB_X3_I0+12+0+0+2:vgprValuB_X3_I0+12+0+0+2+1], v[vgprValuA_X3_I0+0+0+0:vgprValuA_X3_I0+0+0+0+1], v[64:71]
 // Ci += Ar*Bi
/*  mfmaIndex:76  */
v_mfma_f64_16x16x4_f64 v[32+0:39+0], v[vgprValuB_X3_I0+16+0+0:vgprValuB_X3_I0+16+0+0+1], v[vgprValuA_X3_I0+0+0+0:vgprValuA_X3_I0+0+0+0+1], v[32:39]
 // Cr += Ar*Br
/*  mfmaIndex:77  */
v_mfma_f64_16x16x4_f64 v[72+0:79+0], v[vgprValuB_X3_I0+16+0+0:vgprValuB_X3_I0+16+0+0+1], v[vgprValuA_X3_I0+0+0+0+2:vgprValuA_X3_I0+0+0+0+2+1], v[72:79]
 // Ci += Ai*Br
/*  mfmaIndex:78  */
v_mfma_f64_16x16x4_f64 v[32+0:39+0], v[vgprValuB_X3_I0+16+0+0+2:vgprValuB_X3_I0+16+0+0+2+1], v[220:221], v[32:39]
 // Cr += -Ai*Bi
/*  mfmaIndex:79  */
v_mfma_f64_16x16x4_f64 v[72+0:79+0], v[vgprValuB_X3_I0+16+0+0+2:vgprValuB_X3_I0+16+0+0+2+1], v[vgprValuA_X3_I0+0+0+0:vgprValuA_X3_I0+0+0+0+1], v[72:79]
 // Ci += Ar*Bi

label_0014:


/******************************************/
/* Ord. NoLoadLoop - Begin                                      */
/******************************************/


	;; [unrolled: 1-line block ×4, first 2 shown]
/* iter 0 (last unrolled loop) */

/*  grEndMfmaIndex:0, lwStartMfmaIndex:67, lwEndMfmaIndex:67  */
/*  numMfmaForLR:10, barrierMfmaIndex:69, LocalWritePerMfma:0.195 */
/*  mfmaIndex:0  */
s_waitcnt lgkmcnt(0)                               // lgkmcnt=0 vmcnt=-1wait for prior local read local write old=0, new=0 newLW=0 newLR=0
v_add_f64 v[220:221], -v[vgprValuA_X0_I0+0+0+0+2:vgprValuA_X0_I0+0+0+0+2+1], 0 // Ai=-Ai
v_mfma_f64_16x16x4_f64 v[0+0:7+0], v[vgprValuB_X0_I0+0+0+0:vgprValuB_X0_I0+0+0+0+1], v[vgprValuA_X0_I0+0+0+0:vgprValuA_X0_I0+0+0+0+1], v[0:7]
 // Cr += Ar*Br
/*  mfmaIndex:1  */
_ds_load_b128 v[vgprValuA_X1_I0+0:vgprValuA_X1_I0+0+3], v[vgprLocalReadAddrA] offset:64 // L -> Reg lro=4 swapByteOffset=0 ti=64 vIdx=0 rIdx=0 oIdx=0 buffer=1 iui=0
v_mfma_f64_16x16x4_f64 v[40+0:47+0], v[vgprValuB_X0_I0+0+0+0:vgprValuB_X0_I0+0+0+0+1], v[vgprValuA_X0_I0+0+0+0+2:vgprValuA_X0_I0+0+0+0+2+1], v[40:47]
 // Ci += Ai*Br
/*  mfmaIndex:2  */
_ds_load_b128 v[vgprValuB_X1_I0+0:vgprValuB_X1_I0+0+3], v[vgprLocalReadAddrB] offset:5120 // L -> Reg lro=320 swapByteOffset=0 ti=16 vIdx=0 rIdx=0 oIdx=0 buffer=1 iui=0
v_mfma_f64_16x16x4_f64 v[0+0:7+0], v[vgprValuB_X0_I0+0+0+0+2:vgprValuB_X0_I0+0+0+0+2+1], v[220:221], v[0:7]
 // Cr += -Ai*Bi
/*  mfmaIndex:3  */
_ds_load_b128 v[vgprValuB_X1_I0+4:vgprValuB_X1_I0+4+3], v[vgprLocalReadAddrB] offset:5376 // L -> Reg lro=320 swapByteOffset=0 ti=16 vIdx=1 rIdx=0 oIdx=0 buffer=1 iui=0
v_mfma_f64_16x16x4_f64 v[40+0:47+0], v[vgprValuB_X0_I0+0+0+0+2:vgprValuB_X0_I0+0+0+0+2+1], v[vgprValuA_X0_I0+0+0+0:vgprValuA_X0_I0+0+0+0+1], v[40:47]
 // Ci += Ar*Bi
/*  mfmaIndex:4  */
_ds_load_b128 v[vgprValuB_X1_I0+8:vgprValuB_X1_I0+8+3], v[vgprLocalReadAddrB] offset:5632 // L -> Reg lro=320 swapByteOffset=0 ti=16 vIdx=2 rIdx=0 oIdx=0 buffer=1 iui=0
v_mfma_f64_16x16x4_f64 v[8+0:15+0], v[vgprValuB_X0_I0+4+0+0:vgprValuB_X0_I0+4+0+0+1], v[vgprValuA_X0_I0+0+0+0:vgprValuA_X0_I0+0+0+0+1], v[8:15]
 // Cr += Ar*Br
/*  mfmaIndex:5  */
_ds_load_b128 v[vgprValuB_X1_I0+12:vgprValuB_X1_I0+12+3], v[vgprLocalReadAddrB] offset:5888 // L -> Reg lro=320 swapByteOffset=0 ti=16 vIdx=3 rIdx=0 oIdx=0 buffer=1 iui=0
v_mfma_f64_16x16x4_f64 v[48+0:55+0], v[vgprValuB_X0_I0+4+0+0:vgprValuB_X0_I0+4+0+0+1], v[vgprValuA_X0_I0+0+0+0+2:vgprValuA_X0_I0+0+0+0+2+1], v[48:55]
 // Ci += Ai*Br
/*  mfmaIndex:6  */
_ds_load_b128 v[vgprValuB_X1_I0+16:vgprValuB_X1_I0+16+3], v[vgprLocalReadAddrB] offset:6144 // L -> Reg lro=320 swapByteOffset=0 ti=16 vIdx=4 rIdx=0 oIdx=0 buffer=1 iui=0
/* localReadsVacancy: latencyLeft 1 */
v_mfma_f64_16x16x4_f64 v[8+0:15+0], v[vgprValuB_X0_I0+4+0+0+2:vgprValuB_X0_I0+4+0+0+2+1], v[220:221], v[8:15]
 // Cr += -Ai*Bi
/*  mfmaIndex:7  */
/* localReadsVacancy: latencyLeft 5 */
_ds_load_b128 v[vgprValuA_X2_I0+0:vgprValuA_X2_I0+0+3], v[vgprLocalReadAddrA] offset:128 // L -> Reg lro=8 swapByteOffset=0 ti=64 vIdx=0 rIdx=0 oIdx=0 buffer=2 iui=0
v_mfma_f64_16x16x4_f64 v[48+0:55+0], v[vgprValuB_X0_I0+4+0+0+2:vgprValuB_X0_I0+4+0+0+2+1], v[vgprValuA_X0_I0+0+0+0:vgprValuA_X0_I0+0+0+0+1], v[48:55]
 // Ci += Ar*Bi
/*  mfmaIndex:8  */
/* localReadsVacancy: latencyLeft 5 */
_ds_load_b128 v[vgprValuB_X2_I0+0:vgprValuB_X2_I0+0+3], v[vgprLocalReadAddrB] offset:10240 // L -> Reg lro=640 swapByteOffset=0 ti=16 vIdx=0 rIdx=0 oIdx=0 buffer=2 iui=0
v_mfma_f64_16x16x4_f64 v[16+0:23+0], v[vgprValuB_X0_I0+8+0+0:vgprValuB_X0_I0+8+0+0+1], v[vgprValuA_X0_I0+0+0+0:vgprValuA_X0_I0+0+0+0+1], v[16:23]
 // Cr += Ar*Br
/*  mfmaIndex:9  */
/* localReadsVacancy: latencyLeft 5 */
_ds_load_b128 v[vgprValuB_X2_I0+4:vgprValuB_X2_I0+4+3], v[vgprLocalReadAddrB] offset:10496 // L -> Reg lro=640 swapByteOffset=0 ti=16 vIdx=1 rIdx=0 oIdx=0 buffer=2 iui=0
v_mfma_f64_16x16x4_f64 v[56+0:63+0], v[vgprValuB_X0_I0+8+0+0:vgprValuB_X0_I0+8+0+0+1], v[vgprValuA_X0_I0+0+0+0+2:vgprValuA_X0_I0+0+0+0+2+1], v[56:63]
 // Ci += Ai*Br
/*  mfmaIndex:10  */
/* localReadsVacancy: latencyLeft 5 */
_ds_load_b128 v[vgprValuB_X2_I0+8:vgprValuB_X2_I0+8+3], v[vgprLocalReadAddrB] offset:10752 // L -> Reg lro=640 swapByteOffset=0 ti=16 vIdx=2 rIdx=0 oIdx=0 buffer=2 iui=0
v_mfma_f64_16x16x4_f64 v[16+0:23+0], v[vgprValuB_X0_I0+8+0+0+2:vgprValuB_X0_I0+8+0+0+2+1], v[220:221], v[16:23]
 // Cr += -Ai*Bi
/*  mfmaIndex:11  */
/* localReadsVacancy: latencyLeft 5 */
_ds_load_b128 v[vgprValuB_X2_I0+12:vgprValuB_X2_I0+12+3], v[vgprLocalReadAddrB] offset:11008 // L -> Reg lro=640 swapByteOffset=0 ti=16 vIdx=3 rIdx=0 oIdx=0 buffer=2 iui=0
v_mfma_f64_16x16x4_f64 v[56+0:63+0], v[vgprValuB_X0_I0+8+0+0+2:vgprValuB_X0_I0+8+0+0+2+1], v[vgprValuA_X0_I0+0+0+0:vgprValuA_X0_I0+0+0+0+1], v[56:63]
 // Ci += Ar*Bi
/*  mfmaIndex:12  */
/* localReadsVacancy: latencyLeft 5 */
_ds_load_b128 v[vgprValuB_X2_I0+16:vgprValuB_X2_I0+16+3], v[vgprLocalReadAddrB] offset:11264 // L -> Reg lro=640 swapByteOffset=0 ti=16 vIdx=4 rIdx=0 oIdx=0 buffer=2 iui=0
v_mfma_f64_16x16x4_f64 v[24+0:31+0], v[vgprValuB_X0_I0+12+0+0:vgprValuB_X0_I0+12+0+0+1], v[vgprValuA_X0_I0+0+0+0:vgprValuA_X0_I0+0+0+0+1], v[24:31]
 // Cr += Ar*Br
/*  mfmaIndex:13  */
/* localReadsVacancy: latencyLeft 5 */
_ds_load_b128 v[vgprValuA_X3_I0+0:vgprValuA_X3_I0+0+3], v[vgprLocalReadAddrA] offset:192 // L -> Reg lro=12 swapByteOffset=0 ti=64 vIdx=0 rIdx=0 oIdx=0 buffer=3 iui=0
v_mfma_f64_16x16x4_f64 v[64+0:71+0], v[vgprValuB_X0_I0+12+0+0:vgprValuB_X0_I0+12+0+0+1], v[vgprValuA_X0_I0+0+0+0+2:vgprValuA_X0_I0+0+0+0+2+1], v[64:71]
 // Ci += Ai*Br
/*  mfmaIndex:14  */
/* localReadsVacancy: latencyLeft 5 */
_ds_load_b128 v[vgprValuB_X3_I0+0:vgprValuB_X3_I0+0+3], v[vgprLocalReadAddrB] offset:15360 // L -> Reg lro=960 swapByteOffset=0 ti=16 vIdx=0 rIdx=0 oIdx=0 buffer=3 iui=0
v_mfma_f64_16x16x4_f64 v[24+0:31+0], v[vgprValuB_X0_I0+12+0+0+2:vgprValuB_X0_I0+12+0+0+2+1], v[220:221], v[24:31]
 // Cr += -Ai*Bi
/*  mfmaIndex:15  */
/* localReadsVacancy: latencyLeft 5 */
_ds_load_b128 v[vgprValuB_X3_I0+4:vgprValuB_X3_I0+4+3], v[vgprLocalReadAddrB] offset:15616 // L -> Reg lro=960 swapByteOffset=0 ti=16 vIdx=1 rIdx=0 oIdx=0 buffer=3 iui=0
v_mfma_f64_16x16x4_f64 v[64+0:71+0], v[vgprValuB_X0_I0+12+0+0+2:vgprValuB_X0_I0+12+0+0+2+1], v[vgprValuA_X0_I0+0+0+0:vgprValuA_X0_I0+0+0+0+1], v[64:71]
 // Ci += Ar*Bi
/*  mfmaIndex:16  */
/* localReadsVacancy: latencyLeft 5 */
_ds_load_b128 v[vgprValuB_X3_I0+8:vgprValuB_X3_I0+8+3], v[vgprLocalReadAddrB] offset:15872 // L -> Reg lro=960 swapByteOffset=0 ti=16 vIdx=2 rIdx=0 oIdx=0 buffer=3 iui=0
v_mfma_f64_16x16x4_f64 v[32+0:39+0], v[vgprValuB_X0_I0+16+0+0:vgprValuB_X0_I0+16+0+0+1], v[vgprValuA_X0_I0+0+0+0:vgprValuA_X0_I0+0+0+0+1], v[32:39]
 // Cr += Ar*Br
/*  mfmaIndex:17  */
/* localReadsVacancy: latencyLeft 5 */
_ds_load_b128 v[vgprValuB_X3_I0+12:vgprValuB_X3_I0+12+3], v[vgprLocalReadAddrB] offset:16128 // L -> Reg lro=960 swapByteOffset=0 ti=16 vIdx=3 rIdx=0 oIdx=0 buffer=3 iui=0
v_mfma_f64_16x16x4_f64 v[72+0:79+0], v[vgprValuB_X0_I0+16+0+0:vgprValuB_X0_I0+16+0+0+1], v[vgprValuA_X0_I0+0+0+0+2:vgprValuA_X0_I0+0+0+0+2+1], v[72:79]
 // Ci += Ai*Br
/*  mfmaIndex:18  */
/* localReadsVacancy: latencyLeft 5 */
_ds_load_b128 v[vgprValuB_X3_I0+16:vgprValuB_X3_I0+16+3], v[vgprLocalReadAddrB] offset:16384 // L -> Reg lro=960 swapByteOffset=0 ti=16 vIdx=4 rIdx=0 oIdx=0 buffer=3 iui=0
v_mfma_f64_16x16x4_f64 v[32+0:39+0], v[vgprValuB_X0_I0+16+0+0+2:vgprValuB_X0_I0+16+0+0+2+1], v[220:221], v[32:39]
 // Cr += -Ai*Bi
/*  mfmaIndex:19  */
/* localReadsVacancy: latencyLeft 5 */
v_mfma_f64_16x16x4_f64 v[72+0:79+0], v[vgprValuB_X0_I0+16+0+0+2:vgprValuB_X0_I0+16+0+0+2+1], v[vgprValuA_X0_I0+0+0+0:vgprValuA_X0_I0+0+0+0+1], v[72:79]
 // Ci += Ar*Bi
/* numPrefetchIter=0 */
/* dataAtIterA=-1 numReadsIterA=1 skipReadsIterA=1 readsPerIterA=1 */
/* dataAtIterB=-1 numReadsIterB=1 skipReadsIterB=1 readsPerIterB=5 */


/* iter 1 (last unrolled loop) */

/*  grEndMfmaIndex:0, lwStartMfmaIndex:67, lwEndMfmaIndex:67  */
/*  numMfmaForLR:10, barrierMfmaIndex:69, LocalWritePerMfma:0.195 */
/*  mfmaIndex:20  */
/* localReadsVacancy: latencyLeft 5 */
s_waitcnt lgkmcnt(12)                              // lgkmcnt=0 vmcnt=-1wait for prior local read local write old=6, new=6 newLW=0 newLR=0
v_add_f64 v[220:221], -v[vgprValuA_X1_I0+0+0+0+2:vgprValuA_X1_I0+0+0+0+2+1], 0 // Ai=-Ai
v_mfma_f64_16x16x4_f64 v[0+0:7+0], v[vgprValuB_X1_I0+0+0+0:vgprValuB_X1_I0+0+0+0+1], v[vgprValuA_X1_I0+0+0+0:vgprValuA_X1_I0+0+0+0+1], v[0:7]
 // Cr += Ar*Br
/*  mfmaIndex:21  */
/* localReadsVacancy: latencyLeft 5 */
v_mfma_f64_16x16x4_f64 v[40+0:47+0], v[vgprValuB_X1_I0+0+0+0:vgprValuB_X1_I0+0+0+0+1], v[vgprValuA_X1_I0+0+0+0+2:vgprValuA_X1_I0+0+0+0+2+1], v[40:47]
 // Ci += Ai*Br
/*  mfmaIndex:22  */
/* localReadsVacancy: latencyLeft 5 */
v_mfma_f64_16x16x4_f64 v[0+0:7+0], v[vgprValuB_X1_I0+0+0+0+2:vgprValuB_X1_I0+0+0+0+2+1], v[220:221], v[0:7]
 // Cr += -Ai*Bi
/*  mfmaIndex:23  */
/* localReadsVacancy: latencyLeft 5 */
v_mfma_f64_16x16x4_f64 v[40+0:47+0], v[vgprValuB_X1_I0+0+0+0+2:vgprValuB_X1_I0+0+0+0+2+1], v[vgprValuA_X1_I0+0+0+0:vgprValuA_X1_I0+0+0+0+1], v[40:47]
 // Ci += Ar*Bi
/*  mfmaIndex:24  */
/* localReadsVacancy: latencyLeft 5 */
v_mfma_f64_16x16x4_f64 v[8+0:15+0], v[vgprValuB_X1_I0+4+0+0:vgprValuB_X1_I0+4+0+0+1], v[vgprValuA_X1_I0+0+0+0:vgprValuA_X1_I0+0+0+0+1], v[8:15]
 // Cr += Ar*Br
/*  mfmaIndex:25  */
/* localReadsVacancy: latencyLeft 5 */
v_mfma_f64_16x16x4_f64 v[48+0:55+0], v[vgprValuB_X1_I0+4+0+0:vgprValuB_X1_I0+4+0+0+1], v[vgprValuA_X1_I0+0+0+0+2:vgprValuA_X1_I0+0+0+0+2+1], v[48:55]
 // Ci += Ai*Br
/*  mfmaIndex:26  */
/* localReadsVacancy: latencyLeft 5 */
v_mfma_f64_16x16x4_f64 v[8+0:15+0], v[vgprValuB_X1_I0+4+0+0+2:vgprValuB_X1_I0+4+0+0+2+1], v[220:221], v[8:15]
 // Cr += -Ai*Bi
/*  mfmaIndex:27  */
/* localReadsVacancy: latencyLeft 5 */
v_mfma_f64_16x16x4_f64 v[48+0:55+0], v[vgprValuB_X1_I0+4+0+0+2:vgprValuB_X1_I0+4+0+0+2+1], v[vgprValuA_X1_I0+0+0+0:vgprValuA_X1_I0+0+0+0+1], v[48:55]
 // Ci += Ar*Bi
/*  mfmaIndex:28  */
/* localReadsVacancy: latencyLeft 5 */
v_mfma_f64_16x16x4_f64 v[16+0:23+0], v[vgprValuB_X1_I0+8+0+0:vgprValuB_X1_I0+8+0+0+1], v[vgprValuA_X1_I0+0+0+0:vgprValuA_X1_I0+0+0+0+1], v[16:23]
 // Cr += Ar*Br
/*  mfmaIndex:29  */
/* localReadsVacancy: latencyLeft 5 */
v_mfma_f64_16x16x4_f64 v[56+0:63+0], v[vgprValuB_X1_I0+8+0+0:vgprValuB_X1_I0+8+0+0+1], v[vgprValuA_X1_I0+0+0+0+2:vgprValuA_X1_I0+0+0+0+2+1], v[56:63]
 // Ci += Ai*Br
/*  mfmaIndex:30  */
/* localReadsVacancy: latencyLeft 5 */
v_mfma_f64_16x16x4_f64 v[16+0:23+0], v[vgprValuB_X1_I0+8+0+0+2:vgprValuB_X1_I0+8+0+0+2+1], v[220:221], v[16:23]
 // Cr += -Ai*Bi
/*  mfmaIndex:31  */
/* localReadsVacancy: latencyLeft 5 */
v_mfma_f64_16x16x4_f64 v[56+0:63+0], v[vgprValuB_X1_I0+8+0+0+2:vgprValuB_X1_I0+8+0+0+2+1], v[vgprValuA_X1_I0+0+0+0:vgprValuA_X1_I0+0+0+0+1], v[56:63]
 // Ci += Ar*Bi
/*  mfmaIndex:32  */
/* localReadsVacancy: latencyLeft 5 */
v_mfma_f64_16x16x4_f64 v[24+0:31+0], v[vgprValuB_X1_I0+12+0+0:vgprValuB_X1_I0+12+0+0+1], v[vgprValuA_X1_I0+0+0+0:vgprValuA_X1_I0+0+0+0+1], v[24:31]
 // Cr += Ar*Br
/*  mfmaIndex:33  */
/* localReadsVacancy: latencyLeft 5 */
v_mfma_f64_16x16x4_f64 v[64+0:71+0], v[vgprValuB_X1_I0+12+0+0:vgprValuB_X1_I0+12+0+0+1], v[vgprValuA_X1_I0+0+0+0+2:vgprValuA_X1_I0+0+0+0+2+1], v[64:71]
 // Ci += Ai*Br
/*  mfmaIndex:34  */
/* localReadsVacancy: latencyLeft 5 */
v_mfma_f64_16x16x4_f64 v[24+0:31+0], v[vgprValuB_X1_I0+12+0+0+2:vgprValuB_X1_I0+12+0+0+2+1], v[220:221], v[24:31]
 // Cr += -Ai*Bi
/*  mfmaIndex:35  */
/* localReadsVacancy: latencyLeft 5 */
v_mfma_f64_16x16x4_f64 v[64+0:71+0], v[vgprValuB_X1_I0+12+0+0+2:vgprValuB_X1_I0+12+0+0+2+1], v[vgprValuA_X1_I0+0+0+0:vgprValuA_X1_I0+0+0+0+1], v[64:71]
 // Ci += Ar*Bi
/*  mfmaIndex:36  */
/* localReadsVacancy: latencyLeft 5 */
v_mfma_f64_16x16x4_f64 v[32+0:39+0], v[vgprValuB_X1_I0+16+0+0:vgprValuB_X1_I0+16+0+0+1], v[vgprValuA_X1_I0+0+0+0:vgprValuA_X1_I0+0+0+0+1], v[32:39]
 // Cr += Ar*Br
/*  mfmaIndex:37  */
/* localReadsVacancy: latencyLeft 5 */
v_mfma_f64_16x16x4_f64 v[72+0:79+0], v[vgprValuB_X1_I0+16+0+0:vgprValuB_X1_I0+16+0+0+1], v[vgprValuA_X1_I0+0+0+0+2:vgprValuA_X1_I0+0+0+0+2+1], v[72:79]
 // Ci += Ai*Br
/*  mfmaIndex:38  */
/* localReadsVacancy: latencyLeft 5 */
v_mfma_f64_16x16x4_f64 v[32+0:39+0], v[vgprValuB_X1_I0+16+0+0+2:vgprValuB_X1_I0+16+0+0+2+1], v[220:221], v[32:39]
 // Cr += -Ai*Bi
/*  mfmaIndex:39  */
/* localReadsVacancy: latencyLeft 5 */
v_mfma_f64_16x16x4_f64 v[72+0:79+0], v[vgprValuB_X1_I0+16+0+0+2:vgprValuB_X1_I0+16+0+0+2+1], v[vgprValuA_X1_I0+0+0+0:vgprValuA_X1_I0+0+0+0+1], v[72:79]
 // Ci += Ar*Bi
/* numPrefetchIter=0 */
/* dataAtIterA=0 numReadsIterA=2 skipReadsIterA=1 readsPerIterA=1 */
/* dataAtIterB=0 numReadsIterB=2 skipReadsIterB=1 readsPerIterB=5 */


/* iter 2 (last unrolled loop) */

/*  grEndMfmaIndex:0, lwStartMfmaIndex:67, lwEndMfmaIndex:67  */
/*  numMfmaForLR:10, barrierMfmaIndex:69, LocalWritePerMfma:0.195 */
/*  mfmaIndex:40  */
/* localReadsVacancy: latencyLeft 5 */
s_waitcnt lgkmcnt(0)                               // lgkmcnt=0 vmcnt=-1wait for prior local read local write old=0, new=0 newLW=0 newLR=0
v_add_f64 v[220:221], -v[vgprValuA_X2_I0+0+0+0+2:vgprValuA_X2_I0+0+0+0+2+1], 0 // Ai=-Ai
v_mfma_f64_16x16x4_f64 v[0+0:7+0], v[vgprValuB_X2_I0+0+0+0:vgprValuB_X2_I0+0+0+0+1], v[vgprValuA_X2_I0+0+0+0:vgprValuA_X2_I0+0+0+0+1], v[0:7]
 // Cr += Ar*Br
/*  mfmaIndex:41  */
/* localReadsVacancy: latencyLeft 5 */
v_mfma_f64_16x16x4_f64 v[40+0:47+0], v[vgprValuB_X2_I0+0+0+0:vgprValuB_X2_I0+0+0+0+1], v[vgprValuA_X2_I0+0+0+0+2:vgprValuA_X2_I0+0+0+0+2+1], v[40:47]
 // Ci += Ai*Br
/*  mfmaIndex:42  */
/* localReadsVacancy: latencyLeft 5 */
v_mfma_f64_16x16x4_f64 v[0+0:7+0], v[vgprValuB_X2_I0+0+0+0+2:vgprValuB_X2_I0+0+0+0+2+1], v[220:221], v[0:7]
 // Cr += -Ai*Bi
/*  mfmaIndex:43  */
/* localReadsVacancy: latencyLeft 5 */
v_mfma_f64_16x16x4_f64 v[40+0:47+0], v[vgprValuB_X2_I0+0+0+0+2:vgprValuB_X2_I0+0+0+0+2+1], v[vgprValuA_X2_I0+0+0+0:vgprValuA_X2_I0+0+0+0+1], v[40:47]
 // Ci += Ar*Bi
/*  mfmaIndex:44  */
/* localReadsVacancy: latencyLeft 5 */
v_mfma_f64_16x16x4_f64 v[8+0:15+0], v[vgprValuB_X2_I0+4+0+0:vgprValuB_X2_I0+4+0+0+1], v[vgprValuA_X2_I0+0+0+0:vgprValuA_X2_I0+0+0+0+1], v[8:15]
 // Cr += Ar*Br
/*  mfmaIndex:45  */
/* localReadsVacancy: latencyLeft 5 */
v_mfma_f64_16x16x4_f64 v[48+0:55+0], v[vgprValuB_X2_I0+4+0+0:vgprValuB_X2_I0+4+0+0+1], v[vgprValuA_X2_I0+0+0+0+2:vgprValuA_X2_I0+0+0+0+2+1], v[48:55]
 // Ci += Ai*Br
/*  mfmaIndex:46  */
/* localReadsVacancy: latencyLeft 5 */
v_mfma_f64_16x16x4_f64 v[8+0:15+0], v[vgprValuB_X2_I0+4+0+0+2:vgprValuB_X2_I0+4+0+0+2+1], v[220:221], v[8:15]
 // Cr += -Ai*Bi
/*  mfmaIndex:47  */
/* localReadsVacancy: latencyLeft 5 */
v_mfma_f64_16x16x4_f64 v[48+0:55+0], v[vgprValuB_X2_I0+4+0+0+2:vgprValuB_X2_I0+4+0+0+2+1], v[vgprValuA_X2_I0+0+0+0:vgprValuA_X2_I0+0+0+0+1], v[48:55]
 // Ci += Ar*Bi
/*  mfmaIndex:48  */
/* localReadsVacancy: latencyLeft 5 */
	;; [unrolled: 16-line block ×4, first 2 shown]
v_mfma_f64_16x16x4_f64 v[32+0:39+0], v[vgprValuB_X2_I0+16+0+0:vgprValuB_X2_I0+16+0+0+1], v[vgprValuA_X2_I0+0+0+0:vgprValuA_X2_I0+0+0+0+1], v[32:39]
 // Cr += Ar*Br
/*  mfmaIndex:57  */
/* localReadsVacancy: latencyLeft 5 */
v_mfma_f64_16x16x4_f64 v[72+0:79+0], v[vgprValuB_X2_I0+16+0+0:vgprValuB_X2_I0+16+0+0+1], v[vgprValuA_X2_I0+0+0+0+2:vgprValuA_X2_I0+0+0+0+2+1], v[72:79]
 // Ci += Ai*Br
/*  mfmaIndex:58  */
/* localReadsVacancy: latencyLeft 5 */
v_mfma_f64_16x16x4_f64 v[32+0:39+0], v[vgprValuB_X2_I0+16+0+0+2:vgprValuB_X2_I0+16+0+0+2+1], v[220:221], v[32:39]
 // Cr += -Ai*Bi
/*  mfmaIndex:59  */
/* localReadsVacancy: latencyLeft 5 */
v_mfma_f64_16x16x4_f64 v[72+0:79+0], v[vgprValuB_X2_I0+16+0+0+2:vgprValuB_X2_I0+16+0+0+2+1], v[vgprValuA_X2_I0+0+0+0:vgprValuA_X2_I0+0+0+0+1], v[72:79]
 // Ci += Ar*Bi
/* numPrefetchIter=0 */
/* dataAtIterA=1 numReadsIterA=3 skipReadsIterA=1 readsPerIterA=1 */
/* dataAtIterB=1 numReadsIterB=3 skipReadsIterB=1 readsPerIterB=5 */


/* iter 3 (last unrolled loop) */

/*  grEndMfmaIndex:0, lwStartMfmaIndex:67, lwEndMfmaIndex:67  */
/*  numMfmaForLR:10, barrierMfmaIndex:69, LocalWritePerMfma:0.195 */
/*  mfmaIndex:60  */
s_waitcnt lgkmcnt(0)                               // lgkmcnt=0 vmcnt=-1wait for prior local read local write old=0, new=0 newLW=0 newLR=0
v_add_f64 v[220:221], -v[vgprValuA_X3_I0+0+0+0+2:vgprValuA_X3_I0+0+0+0+2+1], 0 // Ai=-Ai
v_mfma_f64_16x16x4_f64 v[0+0:7+0], v[vgprValuB_X3_I0+0+0+0:vgprValuB_X3_I0+0+0+0+1], v[vgprValuA_X3_I0+0+0+0:vgprValuA_X3_I0+0+0+0+1], v[0:7]
 // Cr += Ar*Br
/*  mfmaIndex:61  */
v_mfma_f64_16x16x4_f64 v[40+0:47+0], v[vgprValuB_X3_I0+0+0+0:vgprValuB_X3_I0+0+0+0+1], v[vgprValuA_X3_I0+0+0+0+2:vgprValuA_X3_I0+0+0+0+2+1], v[40:47]
 // Ci += Ai*Br
/*  mfmaIndex:62  */
v_mfma_f64_16x16x4_f64 v[0+0:7+0], v[vgprValuB_X3_I0+0+0+0+2:vgprValuB_X3_I0+0+0+0+2+1], v[220:221], v[0:7]
 // Cr += -Ai*Bi
/*  mfmaIndex:63  */
v_mfma_f64_16x16x4_f64 v[40+0:47+0], v[vgprValuB_X3_I0+0+0+0+2:vgprValuB_X3_I0+0+0+0+2+1], v[vgprValuA_X3_I0+0+0+0:vgprValuA_X3_I0+0+0+0+1], v[40:47]
 // Ci += Ar*Bi
/*  mfmaIndex:64  */
v_mfma_f64_16x16x4_f64 v[8+0:15+0], v[vgprValuB_X3_I0+4+0+0:vgprValuB_X3_I0+4+0+0+1], v[vgprValuA_X3_I0+0+0+0:vgprValuA_X3_I0+0+0+0+1], v[8:15]
 // Cr += Ar*Br
/*  mfmaIndex:65  */
v_mfma_f64_16x16x4_f64 v[48+0:55+0], v[vgprValuB_X3_I0+4+0+0:vgprValuB_X3_I0+4+0+0+1], v[vgprValuA_X3_I0+0+0+0+2:vgprValuA_X3_I0+0+0+0+2+1], v[48:55]
 // Ci += Ai*Br
/*  mfmaIndex:66  */
/* 1 LDS buffer: read-sync-write */
s_waitcnt lgkmcnt(0)                               // 
s_barrier                                          // 
v_mfma_f64_16x16x4_f64 v[8+0:15+0], v[vgprValuB_X3_I0+4+0+0+2:vgprValuB_X3_I0+4+0+0+2+1], v[220:221], v[8:15]
 // Cr += -Ai*Bi
/*  mfmaIndex:67  */
v_mfma_f64_16x16x4_f64 v[48+0:55+0], v[vgprValuB_X3_I0+4+0+0+2:vgprValuB_X3_I0+4+0+0+2+1], v[vgprValuA_X3_I0+0+0+0:vgprValuA_X3_I0+0+0+0+1], v[48:55]
 // Ci += Ar*Bi
/*  mfmaIndex:68  */
v_mfma_f64_16x16x4_f64 v[16+0:23+0], v[vgprValuB_X3_I0+8+0+0:vgprValuB_X3_I0+8+0+0+1], v[vgprValuA_X3_I0+0+0+0:vgprValuA_X3_I0+0+0+0+1], v[16:23]
 // Cr += Ar*Br
/*  mfmaIndex:69  */
v_mfma_f64_16x16x4_f64 v[56+0:63+0], v[vgprValuB_X3_I0+8+0+0:vgprValuB_X3_I0+8+0+0+1], v[vgprValuA_X3_I0+0+0+0+2:vgprValuA_X3_I0+0+0+0+2+1], v[56:63]
 // Ci += Ai*Br
/*  mfmaIndex:70  */
v_mfma_f64_16x16x4_f64 v[16+0:23+0], v[vgprValuB_X3_I0+8+0+0+2:vgprValuB_X3_I0+8+0+0+2+1], v[220:221], v[16:23]
 // Cr += -Ai*Bi
/*  mfmaIndex:71  */
v_mfma_f64_16x16x4_f64 v[56+0:63+0], v[vgprValuB_X3_I0+8+0+0+2:vgprValuB_X3_I0+8+0+0+2+1], v[vgprValuA_X3_I0+0+0+0:vgprValuA_X3_I0+0+0+0+1], v[56:63]
 // Ci += Ar*Bi
/*  mfmaIndex:72  */
v_mfma_f64_16x16x4_f64 v[24+0:31+0], v[vgprValuB_X3_I0+12+0+0:vgprValuB_X3_I0+12+0+0+1], v[vgprValuA_X3_I0+0+0+0:vgprValuA_X3_I0+0+0+0+1], v[24:31]
 // Cr += Ar*Br
/*  mfmaIndex:73  */
v_mfma_f64_16x16x4_f64 v[64+0:71+0], v[vgprValuB_X3_I0+12+0+0:vgprValuB_X3_I0+12+0+0+1], v[vgprValuA_X3_I0+0+0+0+2:vgprValuA_X3_I0+0+0+0+2+1], v[64:71]
 // Ci += Ai*Br
/*  mfmaIndex:74  */
	;; [unrolled: 12-line block ×3, first 2 shown]
v_mfma_f64_16x16x4_f64 v[32+0:39+0], v[vgprValuB_X3_I0+16+0+0+2:vgprValuB_X3_I0+16+0+0+2+1], v[220:221], v[32:39]
 // Cr += -Ai*Bi
/*  mfmaIndex:79  */
v_mfma_f64_16x16x4_f64 v[72+0:79+0], v[vgprValuB_X3_I0+16+0+0+2:vgprValuB_X3_I0+16+0+0+2+1], v[vgprValuA_X3_I0+0+0+0:vgprValuA_X3_I0+0+0+0+1], v[72:79]
 // Ci += Ar*Bi
/* numPrefetchIter=0 */
/* dataAtIterA=2 numReadsIterA=3 skipReadsIterA=0 readsPerIterA=1 */
/* dataAtIterB=2 numReadsIterB=3 skipReadsIterB=0 readsPerIterB=5 */

PrefetchGlobalLastIterEnd_5:


/******************************************/
/* Tail Loop                              */
/******************************************/


/* local write reset offsets a */


	;; [unrolled: 1-line block ×4, first 2 shown]
/* local write reset offsets b */


	;; [unrolled: 1-line block ×4, first 2 shown]
//numIterL = (((sizeL % LOCAL_DEPTHU) + LOCAL_SPLITU - 1) / LOCAL_SPLITU)
s_and_b32 s[sgprLoopCounterL], 15, s[sgprSizesSum+0] // s[sgprLoopCounterL] = s[sgprSizesSum+0] % 16
s_cmp_lg_u32 s[sgprGSUSumIdx], s[sgprGSUSumIdx+1]  // gsuSumIdx == numIterPerWgRemainder
s_cmov_b32 s[sgprLoopCounterL], 0x0                // numIter=0 if gsuSumIdx!=remainder
s_cmp_eq_u32 s[sgprLoopCounterL], 0x0              // numIterL == 0
s_cbranch_scc1 SkipTailLoopL_8                     // skip to end of tail loop b/c numIter==0
s_mov_b32 s[sgprOrigLoopCounter], 0                // repurpose to count each localRead increment


/* Update M0 for DTLDS */


	;; [unrolled: 1-line block ×3, first 2 shown]
/* global read a */

/* g2l=0, load component 0 */
_buffer_load_b128 v[vgprG2LA+0+0:vgprG2LA+0+0+3], v[vgprGlobalReadOffsetA+0], s[sgprSrdA:sgprSrdA+3], 0, offen offset:0 // load one buffer value
/* g2l=4, load component 0 */
_buffer_load_b128 v[vgprG2LA+4+0:vgprG2LA+4+0+3], v[vgprGlobalReadOffsetA+0], s[sgprSrdA:sgprSrdA+3], s[sgprScalarGlobalReadOffsetA+0], offen offset:0 // load one buffer value
/* g2l=8, load component 0 */
_buffer_load_b128 v[vgprG2LA+8+0:vgprG2LA+8+0+3], v[vgprGlobalReadOffsetA+0], s[sgprSrdA:sgprSrdA+3], s[sgprScalarGlobalReadOffsetA+1], offen offset:0 // load one buffer value
	;; [unrolled: 2-line block ×3, first 2 shown]


/* Update M0 for DTLDS */


	;; [unrolled: 1-line block ×3, first 2 shown]
/* global read b */

/* g2l=0, load component 0 */
_buffer_load_b128 v[vgprG2LB+0+0:vgprG2LB+0+0+3], v[vgprGlobalReadOffsetB+0], s[sgprSrdB:sgprSrdB+3], 0, offen offset:0,  nt // load one buffer value
/* g2l=4, load component 0 */
_buffer_load_b128 v[vgprG2LB+4+0:vgprG2LB+4+0+3], v[vgprGlobalReadOffsetB+0], s[sgprSrdB:sgprSrdB+3], s[sgprScalarGlobalReadOffsetB+0], offen offset:0,  nt // load one buffer value
/* g2l=8, load component 0 */
_buffer_load_b128 v[vgprG2LB+8+0:vgprG2LB+8+0+3], v[vgprGlobalReadOffsetB+0], s[sgprSrdB:sgprSrdB+3], s[sgprScalarGlobalReadOffsetB+1], offen offset:0,  nt // load one buffer value
	;; [unrolled: 2-line block ×4, first 2 shown]

s_waitcnt vmcnt(0)                                 // lgkmcnt=-1 vmcnt=02wait for global read

// Skip force waitcnt0
s_barrier //


/* Done global A/B reads */


	;; [unrolled: 1-line block ×4, first 2 shown]
/* local write a */

_ds_store_b128 v[vgprLocalWriteAddrA], v[vgprG2LA+0:vgprG2LA+0+3] offset:0 // lwoA_0_0_0_0 = (0*LSCA)*(MT0I+PAD) + (0*LSPA) = 0
_ds_store_b128 v[vgprLocalWriteAddrA], v[vgprG2LA+4:vgprG2LA+4+3] offset:4608 // lwoA_0_0_1_0 = (0*LSCA)*(MT0I+PAD) + (1*LSPA) = 4608
_ds_store_b128 v[vgprLocalWriteAddrA], v[vgprG2LA+8:vgprG2LA+8+3] offset:9216 // lwoA_0_0_2_0 = (0*LSCA)*(MT0I+PAD) + (2*LSPA) = 9216
_ds_store_b128 v[vgprLocalWriteAddrA], v[vgprG2LA+12:vgprG2LA+12+3] offset:13824 // lwoA_0_0_3_0 = (0*LSCA)*(MT0I+PAD) + (3*LSPA) = 13824


/* local write b */

_ds_store_b128 v[vgprLocalWriteAddrB], v[vgprG2LB+0:vgprG2LB+0+3] offset:0 // lwoB_0_0_0_0 = (0*LSCB) + (0*LSPB)(*MT1J+PAD) = 0
_ds_store_b128 v[vgprLocalWriteAddrB], v[vgprG2LB+4:vgprG2LB+4+3] offset:256 // lwoB_1_0_0_0 = (1*LSCB) + (0*LSPB)(*MT1J+PAD) = 256
_ds_store_b128 v[vgprLocalWriteAddrB], v[vgprG2LB+8:vgprG2LB+8+3] offset:512 // lwoB_2_0_0_0 = (2*LSCB) + (0*LSPB)(*MT1J+PAD) = 512
_ds_store_b128 v[vgprLocalWriteAddrB], v[vgprG2LB+12:vgprG2LB+12+3] offset:768 // lwoB_3_0_0_0 = (3*LSCB) + (0*LSPB)(*MT1J+PAD) = 768
_ds_store_b128 v[vgprLocalWriteAddrB], v[vgprG2LB+16:vgprG2LB+16+3] offset:1024 // lwoB_4_0_0_0 = (4*LSCB) + (0*LSPB)(*MT1J+PAD) = 1024


/* Recalc local read offsets */


s_waitcnt lgkmcnt(0)                               // lgkmcnt=0 vmcnt=-15wait for local write

// Skip force waitcnt0
s_barrier //


/* local read reset offsets a */


	;; [unrolled: 1-line block ×3, first 2 shown]
/* local read reset offsets b */


	;; [unrolled: 1-line block ×3, first 2 shown]
/* local read init pointers a */


/* localReadInitPointers */


/* local read init pointers b */


/* localReadInitPointers */


/* tail loop: macs */

TailLoopBeginL_6:


/* tail loop unroll iter 0 */


/* local read a */

_ds_load_b128 v[vgprValuA_X0_I0+0:vgprValuA_X0_I0+0+3], v[vgprLocalReadAddrA] offset:0 // L -> Reg lro=0 swapByteOffset=0 ti=64 vIdx=0 rIdx=0 oIdx=0 buffer=0 iui=0


/* local read b */

_ds_load_b128 v[vgprValuB_X0_I0+0:vgprValuB_X0_I0+0+3], v[vgprLocalReadAddrB] offset:0 // L -> Reg lro=0 swapByteOffset=0 ti=16 vIdx=0 rIdx=0 oIdx=0 buffer=0 iui=0
_ds_load_b128 v[vgprValuB_X0_I0+4:vgprValuB_X0_I0+4+3], v[vgprLocalReadAddrB] offset:256 // L -> Reg lro=0 swapByteOffset=0 ti=16 vIdx=1 rIdx=0 oIdx=0 buffer=0 iui=0
	;; [unrolled: 1-line block ×5, first 2 shown]


/* local read inc a */

s_mov_b32 s10, 0x40                                // inc
_v_add_co_u32 v[vgprLocalReadAddrA], vcc, s10, v[vgprLocalReadAddrA] // lrA += 64 (LSU*bpe)


/* local read inc b */

s_mov_b32 s10, 0x1400                              // inc
_v_add_co_u32 v[vgprLocalReadAddrB], vcc, s10, v[vgprLocalReadAddrB] // lrB += 5120 (LSU*(MT+PAD)*bpe)

s_waitcnt lgkmcnt(0)                               // lgkmcnt=0 vmcnt=-14wait for local read


	;; [unrolled: 1-line block ×3, first 2 shown]
/* tail loop mfma iter 0: numReadsIterCoalescedA=1, numReadsIterCoalescedB=1 */
v_and_b32 v219, 63, v[vgprSerial]                  // v219 = v[vgprSerial] % 64
v_lshrrev_b32 v219, 4, v219                        // v219 = v219 / 16
                                                   // v219 = v219 * 1 (multiplier is 1, do nothing)
v_cmp_ge_i32 s[66:67], v219, s[sgprLoopCounterL]   // check K index >= Size L
v_cndmask_b32 v[vgprValuA_X0_I0+0+0+0+0], v[vgprValuA_X0_I0+0+0+0+0], 0x0, s[66:67] // set 0 if K_idx >= sizeL
v_cndmask_b32 v[vgprValuA_X0_I0+0+0+0+1], v[vgprValuA_X0_I0+0+0+0+1], 0x0, s[66:67] // set 0 if K_idx >= sizeL
v_cndmask_b32 v[vgprValuA_X0_I0+0+0+0+2], v[vgprValuA_X0_I0+0+0+0+2], 0x0, s[66:67] // set 0 if K_idx >= sizeL
v_cndmask_b32 v[vgprValuA_X0_I0+0+0+0+3], v[vgprValuA_X0_I0+0+0+0+3], 0x0, s[66:67] // set 0 if K_idx >= sizeL
s_nop 1
v_add_f64 v[220:221], -v[vgprValuA_X0_I0+0+0+0+2:vgprValuA_X0_I0+0+0+0+2+1], 0 // Ai=-Ai
v_mfma_f64_16x16x4_f64 v[0+0:7+0], v[vgprValuB_X0_I0+0+0+0:vgprValuB_X0_I0+0+0+0+1], v[vgprValuA_X0_I0+0+0+0:vgprValuA_X0_I0+0+0+0+1], v[0:7]
 // Cr += Ar*Br
v_mfma_f64_16x16x4_f64 v[40+0:47+0], v[vgprValuB_X0_I0+0+0+0:vgprValuB_X0_I0+0+0+0+1], v[vgprValuA_X0_I0+0+0+0+2:vgprValuA_X0_I0+0+0+0+2+1], v[40:47]
 // Ci += Ai*Br
v_mfma_f64_16x16x4_f64 v[0+0:7+0], v[vgprValuB_X0_I0+0+0+0+2:vgprValuB_X0_I0+0+0+0+2+1], v[220:221], v[0:7]
 // Cr += -Ai*Bi
v_mfma_f64_16x16x4_f64 v[40+0:47+0], v[vgprValuB_X0_I0+0+0+0+2:vgprValuB_X0_I0+0+0+0+2+1], v[vgprValuA_X0_I0+0+0+0:vgprValuA_X0_I0+0+0+0+1], v[40:47]
 // Ci += Ar*Bi
v_mfma_f64_16x16x4_f64 v[8+0:15+0], v[vgprValuB_X0_I0+4+0+0:vgprValuB_X0_I0+4+0+0+1], v[vgprValuA_X0_I0+0+0+0:vgprValuA_X0_I0+0+0+0+1], v[8:15]
 // Cr += Ar*Br
v_mfma_f64_16x16x4_f64 v[48+0:55+0], v[vgprValuB_X0_I0+4+0+0:vgprValuB_X0_I0+4+0+0+1], v[vgprValuA_X0_I0+0+0+0+2:vgprValuA_X0_I0+0+0+0+2+1], v[48:55]
 // Ci += Ai*Br
v_mfma_f64_16x16x4_f64 v[8+0:15+0], v[vgprValuB_X0_I0+4+0+0+2:vgprValuB_X0_I0+4+0+0+2+1], v[220:221], v[8:15]
 // Cr += -Ai*Bi
v_mfma_f64_16x16x4_f64 v[48+0:55+0], v[vgprValuB_X0_I0+4+0+0+2:vgprValuB_X0_I0+4+0+0+2+1], v[vgprValuA_X0_I0+0+0+0:vgprValuA_X0_I0+0+0+0+1], v[48:55]
 // Ci += Ar*Bi
	;; [unrolled: 8-line block ×5, first 2 shown]


/* closeLoop loopL finalLoop=0 tailLoop=1 */
s_sub_i32 s[sgprLoopCounterL], s[sgprLoopCounterL], 0x4 // dec counterL (tailLoop)
s_add_u32 s[sgprOrigLoopCounter], s[sgprOrigLoopCounter], 0x4 // inc counterL
s_cmp_le_i32 s[sgprLoopCounterL], 0x0              // counterL<=0
s_cbranch_scc1 TailLoopEndL_7                      // exit LoopL


/* tail loop unroll iter 1 */


/* local read a */

_ds_load_b128 v[vgprValuA_X1_I0+0:vgprValuA_X1_I0+0+3], v[vgprLocalReadAddrA] offset:0 // L -> Reg lro=0 swapByteOffset=0 ti=64 vIdx=0 rIdx=0 oIdx=0 buffer=1 iui=0


/* local read b */

_ds_load_b128 v[vgprValuB_X1_I0+0:vgprValuB_X1_I0+0+3], v[vgprLocalReadAddrB] offset:0 // L -> Reg lro=0 swapByteOffset=0 ti=16 vIdx=0 rIdx=0 oIdx=0 buffer=1 iui=0
_ds_load_b128 v[vgprValuB_X1_I0+4:vgprValuB_X1_I0+4+3], v[vgprLocalReadAddrB] offset:256 // L -> Reg lro=0 swapByteOffset=0 ti=16 vIdx=1 rIdx=0 oIdx=0 buffer=1 iui=0
_ds_load_b128 v[vgprValuB_X1_I0+8:vgprValuB_X1_I0+8+3], v[vgprLocalReadAddrB] offset:512 // L -> Reg lro=0 swapByteOffset=0 ti=16 vIdx=2 rIdx=0 oIdx=0 buffer=1 iui=0
_ds_load_b128 v[vgprValuB_X1_I0+12:vgprValuB_X1_I0+12+3], v[vgprLocalReadAddrB] offset:768 // L -> Reg lro=0 swapByteOffset=0 ti=16 vIdx=3 rIdx=0 oIdx=0 buffer=1 iui=0
_ds_load_b128 v[vgprValuB_X1_I0+16:vgprValuB_X1_I0+16+3], v[vgprLocalReadAddrB] offset:1024 // L -> Reg lro=0 swapByteOffset=0 ti=16 vIdx=4 rIdx=0 oIdx=0 buffer=1 iui=0


/* local read inc a */

s_mov_b32 s10, 0x40                                // inc
_v_add_co_u32 v[vgprLocalReadAddrA], vcc, s10, v[vgprLocalReadAddrA] // lrA += 64 (LSU*bpe)


/* local read inc b */

s_mov_b32 s10, 0x1400                              // inc
_v_add_co_u32 v[vgprLocalReadAddrB], vcc, s10, v[vgprLocalReadAddrB] // lrB += 5120 (LSU*(MT+PAD)*bpe)

s_waitcnt lgkmcnt(0)                               // lgkmcnt=0 vmcnt=-14wait for local read


	;; [unrolled: 1-line block ×3, first 2 shown]
/* tail loop mfma iter 1: numReadsIterCoalescedA=1, numReadsIterCoalescedB=1 */
v_and_b32 v219, 63, v[vgprSerial]                  // v219 = v[vgprSerial] % 64
v_lshrrev_b32 v219, 4, v219                        // v219 = v219 / 16
                                                   // v219 = v219 * 1 (multiplier is 1, do nothing)
v_cmp_ge_i32 s[66:67], v219, s[sgprLoopCounterL]   // check K index >= Size L
v_cndmask_b32 v[vgprValuA_X1_I0+0+0+0+0], v[vgprValuA_X1_I0+0+0+0+0], 0x0, s[66:67] // set 0 if K_idx >= sizeL
v_cndmask_b32 v[vgprValuA_X1_I0+0+0+0+1], v[vgprValuA_X1_I0+0+0+0+1], 0x0, s[66:67] // set 0 if K_idx >= sizeL
	;; [unrolled: 1-line block ×4, first 2 shown]
s_nop 1
v_add_f64 v[220:221], -v[vgprValuA_X1_I0+0+0+0+2:vgprValuA_X1_I0+0+0+0+2+1], 0 // Ai=-Ai
v_mfma_f64_16x16x4_f64 v[0+0:7+0], v[vgprValuB_X1_I0+0+0+0:vgprValuB_X1_I0+0+0+0+1], v[vgprValuA_X1_I0+0+0+0:vgprValuA_X1_I0+0+0+0+1], v[0:7]
 // Cr += Ar*Br
v_mfma_f64_16x16x4_f64 v[40+0:47+0], v[vgprValuB_X1_I0+0+0+0:vgprValuB_X1_I0+0+0+0+1], v[vgprValuA_X1_I0+0+0+0+2:vgprValuA_X1_I0+0+0+0+2+1], v[40:47]
 // Ci += Ai*Br
v_mfma_f64_16x16x4_f64 v[0+0:7+0], v[vgprValuB_X1_I0+0+0+0+2:vgprValuB_X1_I0+0+0+0+2+1], v[220:221], v[0:7]
 // Cr += -Ai*Bi
v_mfma_f64_16x16x4_f64 v[40+0:47+0], v[vgprValuB_X1_I0+0+0+0+2:vgprValuB_X1_I0+0+0+0+2+1], v[vgprValuA_X1_I0+0+0+0:vgprValuA_X1_I0+0+0+0+1], v[40:47]
 // Ci += Ar*Bi
v_mfma_f64_16x16x4_f64 v[8+0:15+0], v[vgprValuB_X1_I0+4+0+0:vgprValuB_X1_I0+4+0+0+1], v[vgprValuA_X1_I0+0+0+0:vgprValuA_X1_I0+0+0+0+1], v[8:15]
 // Cr += Ar*Br
v_mfma_f64_16x16x4_f64 v[48+0:55+0], v[vgprValuB_X1_I0+4+0+0:vgprValuB_X1_I0+4+0+0+1], v[vgprValuA_X1_I0+0+0+0+2:vgprValuA_X1_I0+0+0+0+2+1], v[48:55]
 // Ci += Ai*Br
v_mfma_f64_16x16x4_f64 v[8+0:15+0], v[vgprValuB_X1_I0+4+0+0+2:vgprValuB_X1_I0+4+0+0+2+1], v[220:221], v[8:15]
 // Cr += -Ai*Bi
v_mfma_f64_16x16x4_f64 v[48+0:55+0], v[vgprValuB_X1_I0+4+0+0+2:vgprValuB_X1_I0+4+0+0+2+1], v[vgprValuA_X1_I0+0+0+0:vgprValuA_X1_I0+0+0+0+1], v[48:55]
 // Ci += Ar*Bi
	;; [unrolled: 8-line block ×5, first 2 shown]


/* closeLoop loopL finalLoop=0 tailLoop=1 */
s_sub_i32 s[sgprLoopCounterL], s[sgprLoopCounterL], 0x4 // dec counterL (tailLoop)
s_add_u32 s[sgprOrigLoopCounter], s[sgprOrigLoopCounter], 0x4 // inc counterL
s_cmp_le_i32 s[sgprLoopCounterL], 0x0              // counterL<=0
s_cbranch_scc1 TailLoopEndL_7                      // exit LoopL


/* tail loop unroll iter 2 */


/* local read a */

_ds_load_b128 v[vgprValuA_X2_I0+0:vgprValuA_X2_I0+0+3], v[vgprLocalReadAddrA] offset:0 // L -> Reg lro=0 swapByteOffset=0 ti=64 vIdx=0 rIdx=0 oIdx=0 buffer=2 iui=0


/* local read b */

_ds_load_b128 v[vgprValuB_X2_I0+0:vgprValuB_X2_I0+0+3], v[vgprLocalReadAddrB] offset:0 // L -> Reg lro=0 swapByteOffset=0 ti=16 vIdx=0 rIdx=0 oIdx=0 buffer=2 iui=0
_ds_load_b128 v[vgprValuB_X2_I0+4:vgprValuB_X2_I0+4+3], v[vgprLocalReadAddrB] offset:256 // L -> Reg lro=0 swapByteOffset=0 ti=16 vIdx=1 rIdx=0 oIdx=0 buffer=2 iui=0
	;; [unrolled: 1-line block ×5, first 2 shown]


/* local read inc a */

s_mov_b32 s10, 0x40                                // inc
_v_add_co_u32 v[vgprLocalReadAddrA], vcc, s10, v[vgprLocalReadAddrA] // lrA += 64 (LSU*bpe)


/* local read inc b */

s_mov_b32 s10, 0x1400                              // inc
_v_add_co_u32 v[vgprLocalReadAddrB], vcc, s10, v[vgprLocalReadAddrB] // lrB += 5120 (LSU*(MT+PAD)*bpe)

s_waitcnt lgkmcnt(0)                               // lgkmcnt=0 vmcnt=-14wait for local read


	;; [unrolled: 1-line block ×3, first 2 shown]
/* tail loop mfma iter 2: numReadsIterCoalescedA=1, numReadsIterCoalescedB=1 */
v_and_b32 v219, 63, v[vgprSerial]                  // v219 = v[vgprSerial] % 64
v_lshrrev_b32 v219, 4, v219                        // v219 = v219 / 16
                                                   // v219 = v219 * 1 (multiplier is 1, do nothing)
v_cmp_ge_i32 s[66:67], v219, s[sgprLoopCounterL]   // check K index >= Size L
v_cndmask_b32 v[vgprValuA_X2_I0+0+0+0+0], v[vgprValuA_X2_I0+0+0+0+0], 0x0, s[66:67] // set 0 if K_idx >= sizeL
v_cndmask_b32 v[vgprValuA_X2_I0+0+0+0+1], v[vgprValuA_X2_I0+0+0+0+1], 0x0, s[66:67] // set 0 if K_idx >= sizeL
	;; [unrolled: 1-line block ×4, first 2 shown]
s_nop 1
v_add_f64 v[220:221], -v[vgprValuA_X2_I0+0+0+0+2:vgprValuA_X2_I0+0+0+0+2+1], 0 // Ai=-Ai
v_mfma_f64_16x16x4_f64 v[0+0:7+0], v[vgprValuB_X2_I0+0+0+0:vgprValuB_X2_I0+0+0+0+1], v[vgprValuA_X2_I0+0+0+0:vgprValuA_X2_I0+0+0+0+1], v[0:7]
 // Cr += Ar*Br
v_mfma_f64_16x16x4_f64 v[40+0:47+0], v[vgprValuB_X2_I0+0+0+0:vgprValuB_X2_I0+0+0+0+1], v[vgprValuA_X2_I0+0+0+0+2:vgprValuA_X2_I0+0+0+0+2+1], v[40:47]
 // Ci += Ai*Br
v_mfma_f64_16x16x4_f64 v[0+0:7+0], v[vgprValuB_X2_I0+0+0+0+2:vgprValuB_X2_I0+0+0+0+2+1], v[220:221], v[0:7]
 // Cr += -Ai*Bi
v_mfma_f64_16x16x4_f64 v[40+0:47+0], v[vgprValuB_X2_I0+0+0+0+2:vgprValuB_X2_I0+0+0+0+2+1], v[vgprValuA_X2_I0+0+0+0:vgprValuA_X2_I0+0+0+0+1], v[40:47]
 // Ci += Ar*Bi
v_mfma_f64_16x16x4_f64 v[8+0:15+0], v[vgprValuB_X2_I0+4+0+0:vgprValuB_X2_I0+4+0+0+1], v[vgprValuA_X2_I0+0+0+0:vgprValuA_X2_I0+0+0+0+1], v[8:15]
 // Cr += Ar*Br
v_mfma_f64_16x16x4_f64 v[48+0:55+0], v[vgprValuB_X2_I0+4+0+0:vgprValuB_X2_I0+4+0+0+1], v[vgprValuA_X2_I0+0+0+0+2:vgprValuA_X2_I0+0+0+0+2+1], v[48:55]
 // Ci += Ai*Br
v_mfma_f64_16x16x4_f64 v[8+0:15+0], v[vgprValuB_X2_I0+4+0+0+2:vgprValuB_X2_I0+4+0+0+2+1], v[220:221], v[8:15]
 // Cr += -Ai*Bi
v_mfma_f64_16x16x4_f64 v[48+0:55+0], v[vgprValuB_X2_I0+4+0+0+2:vgprValuB_X2_I0+4+0+0+2+1], v[vgprValuA_X2_I0+0+0+0:vgprValuA_X2_I0+0+0+0+1], v[48:55]
 // Ci += Ar*Bi
	;; [unrolled: 8-line block ×5, first 2 shown]


/* closeLoop loopL finalLoop=0 tailLoop=1 */
s_sub_i32 s[sgprLoopCounterL], s[sgprLoopCounterL], 0x4 // dec counterL (tailLoop)
s_add_u32 s[sgprOrigLoopCounter], s[sgprOrigLoopCounter], 0x4 // inc counterL
s_cmp_le_i32 s[sgprLoopCounterL], 0x0              // counterL<=0
s_cbranch_scc1 TailLoopEndL_7                      // exit LoopL


/* tail loop unroll iter 3 */


/* local read a */

_ds_load_b128 v[vgprValuA_X3_I0+0:vgprValuA_X3_I0+0+3], v[vgprLocalReadAddrA] offset:0 // L -> Reg lro=0 swapByteOffset=0 ti=64 vIdx=0 rIdx=0 oIdx=0 buffer=3 iui=0


/* local read b */

_ds_load_b128 v[vgprValuB_X3_I0+0:vgprValuB_X3_I0+0+3], v[vgprLocalReadAddrB] offset:0 // L -> Reg lro=0 swapByteOffset=0 ti=16 vIdx=0 rIdx=0 oIdx=0 buffer=3 iui=0
_ds_load_b128 v[vgprValuB_X3_I0+4:vgprValuB_X3_I0+4+3], v[vgprLocalReadAddrB] offset:256 // L -> Reg lro=0 swapByteOffset=0 ti=16 vIdx=1 rIdx=0 oIdx=0 buffer=3 iui=0
	;; [unrolled: 1-line block ×5, first 2 shown]


/* local read inc a */

s_mov_b32 s10, 0x60                                // inc
_v_add_co_u32 v[vgprLocalReadAddrA], vcc, s10, v[vgprLocalReadAddrA] // lrA += 96 (LSU*bpe)


/* local read inc b */

s_mov_b32 s10, 0x1400                              // inc
_v_add_co_u32 v[vgprLocalReadAddrB], vcc, s10, v[vgprLocalReadAddrB] // lrB += 5120 (LSU*(MT+PAD)*bpe)

s_waitcnt lgkmcnt(0)                               // lgkmcnt=0 vmcnt=-14wait for local read


	;; [unrolled: 1-line block ×3, first 2 shown]
/* tail loop mfma iter 3: numReadsIterCoalescedA=1, numReadsIterCoalescedB=1 */
v_and_b32 v219, 63, v[vgprSerial]                  // v219 = v[vgprSerial] % 64
v_lshrrev_b32 v219, 4, v219                        // v219 = v219 / 16
                                                   // v219 = v219 * 1 (multiplier is 1, do nothing)
v_cmp_ge_i32 s[66:67], v219, s[sgprLoopCounterL]   // check K index >= Size L
v_cndmask_b32 v[vgprValuA_X3_I0+0+0+0+0], v[vgprValuA_X3_I0+0+0+0+0], 0x0, s[66:67] // set 0 if K_idx >= sizeL
v_cndmask_b32 v[vgprValuA_X3_I0+0+0+0+1], v[vgprValuA_X3_I0+0+0+0+1], 0x0, s[66:67] // set 0 if K_idx >= sizeL
	;; [unrolled: 1-line block ×4, first 2 shown]
s_nop 1
v_add_f64 v[220:221], -v[vgprValuA_X3_I0+0+0+0+2:vgprValuA_X3_I0+0+0+0+2+1], 0 // Ai=-Ai
v_mfma_f64_16x16x4_f64 v[0+0:7+0], v[vgprValuB_X3_I0+0+0+0:vgprValuB_X3_I0+0+0+0+1], v[vgprValuA_X3_I0+0+0+0:vgprValuA_X3_I0+0+0+0+1], v[0:7]
 // Cr += Ar*Br
v_mfma_f64_16x16x4_f64 v[40+0:47+0], v[vgprValuB_X3_I0+0+0+0:vgprValuB_X3_I0+0+0+0+1], v[vgprValuA_X3_I0+0+0+0+2:vgprValuA_X3_I0+0+0+0+2+1], v[40:47]
 // Ci += Ai*Br
v_mfma_f64_16x16x4_f64 v[0+0:7+0], v[vgprValuB_X3_I0+0+0+0+2:vgprValuB_X3_I0+0+0+0+2+1], v[220:221], v[0:7]
 // Cr += -Ai*Bi
v_mfma_f64_16x16x4_f64 v[40+0:47+0], v[vgprValuB_X3_I0+0+0+0+2:vgprValuB_X3_I0+0+0+0+2+1], v[vgprValuA_X3_I0+0+0+0:vgprValuA_X3_I0+0+0+0+1], v[40:47]
 // Ci += Ar*Bi
v_mfma_f64_16x16x4_f64 v[8+0:15+0], v[vgprValuB_X3_I0+4+0+0:vgprValuB_X3_I0+4+0+0+1], v[vgprValuA_X3_I0+0+0+0:vgprValuA_X3_I0+0+0+0+1], v[8:15]
 // Cr += Ar*Br
v_mfma_f64_16x16x4_f64 v[48+0:55+0], v[vgprValuB_X3_I0+4+0+0:vgprValuB_X3_I0+4+0+0+1], v[vgprValuA_X3_I0+0+0+0+2:vgprValuA_X3_I0+0+0+0+2+1], v[48:55]
 // Ci += Ai*Br
v_mfma_f64_16x16x4_f64 v[8+0:15+0], v[vgprValuB_X3_I0+4+0+0+2:vgprValuB_X3_I0+4+0+0+2+1], v[220:221], v[8:15]
 // Cr += -Ai*Bi
v_mfma_f64_16x16x4_f64 v[48+0:55+0], v[vgprValuB_X3_I0+4+0+0+2:vgprValuB_X3_I0+4+0+0+2+1], v[vgprValuA_X3_I0+0+0+0:vgprValuA_X3_I0+0+0+0+1], v[48:55]
 // Ci += Ar*Bi
	;; [unrolled: 8-line block ×5, first 2 shown]


/* closeLoop loopL finalLoop=1 tailLoop=1 */
s_sub_i32 s[sgprLoopCounterL], s[sgprLoopCounterL], 0x4 // dec counterL (tailLoop)
s_add_u32 s[sgprOrigLoopCounter], s[sgprOrigLoopCounter], 0x4 // inc counterL
s_cmp_le_i32 s[sgprLoopCounterL], 0x0              // counterL<=0
s_cbranch_scc0 TailLoopBeginL_6                    // restart LoopL
TailLoopEndL_7:

SkipTailLoopL_8:

Summation_End_19:
/* endSummation: add vgpr [80...216) to pool */
.set ScalarGlobalReadOffsetB, UNDEF

/* Mapping of Acc register -> C Vgpr register */

/* Rearrange MI out register -> C Vgpr register */


	;; [unrolled: 1-line block ×3, first 2 shown]
/* not-LocalSplitU: global write indices */

/* computeStoreVgprs */
v_lshrrev_b32 v84, 6, v[vgprSerial]                // v84 = v[vgprSerial] / 64
v_and_b32 v81, 63, v[vgprSerial]                   // v81 = v[vgprSerial] % 64
v_lshrrev_b32 v81, 4, v81                          // v81 = v81 / 16
                                                   // thread0 * continuous_output (multiplier is 1, do nothing)
v_lshrrev_b32 v85, 2, v84                          // v85 = v84 / 4
v_mul_lo_u32 v85, 0x10, v85                        // wave coordination offset 1
_v_add_lshl_u32 v81, v85, v81, 0                   // coordination 1 = vwb *(wave_id1 + tid1)
v_mul_lo_u32 v82, v81, s[sgprStrideC1J]            //  offset 1
v_mul_lo_u32 v83, v81, s[sgprStrideD1J]            //  offset 1
v_and_b32 v85, 3, v84                              // v85 = v84 % 4
v_mul_lo_u32 v85, 0x10, v85                        // wave coordination offset 0
v_and_b32 v80, 15, v[vgprSerial]                   // v80 = v[vgprSerial] % 16
_v_add_lshl_u32 v80, v85, v80, 0                   // coordination 0 = vwa *(wave_id0 + tid0)
s_mul_i32 s10, 64, s[sgprWorkGroup0]               // wgp0 * MT0
_v_add_u32 v80, s10, v80                           // coord 0 = (tid0/MI_m)*4 + waveG0*MIB_m + MT0*SG0
s_mul_i32 s10, 80, s[sgprWorkGroup1]               // wgp1 * MT1
_v_add_u32 v81, s10, v81                           // coord 1 = (tid0%MI_m) + waveG1*MIB_n + MT1*SG1


/* not-LocalSplitU: global write */

s_and_b32 s62, 63, s[sgprSizeI]                    // s62 = s[sgprSizeI] % 64
s_add_u32 s63, -0x1, s[sgprNumWorkGroups0]         // 
s_cmp_ge_u32 s[sgprWorkGroup0], s63                // wg0 >= nwg0-1 ?
s_cselect_b32 s62, s62, 0                          // set rMT0
s_cmpk_gt_u32 s62, 0x0                             // rMT0 > 0
s_cbranch_scc1 GW_B0_E1_25                         // jump if edges required
s_mov_b32 s65, 0x0                                 // STATIC_DIV: divisior=80
s_mul_i32 s64, 0x666, s[sgprSizeJ]                 // tmp1 = dividend * magic hi
s_lshl_b64 s[64:65], s[64:65], 0x10                // left shift 16 bits
s_mul_i32 s63, s[sgprSizeJ], 0x6667                // tmp0 = dividend * magic lo
s_add_u32 s64, s63, s64                            // add lo
s_addc_u32 s65, s65, 0x0                           // add hi
s_lshr_b64 s[64:65], s[64:65], 0x21                // tmp1 = (dividend * magic) << shift
s_mov_b32 s63, s64                                 // quotient
s_mul_i32 s64, s63, 0x50                           // quotient*divisor
s_sub_u32 s62, s[sgprSizeJ], s64                   // rReg = dividend - quotient*divisor
s_add_u32 s63, -0x1, s[sgprNumWorkGroups1]         // 
s_cmp_ge_u32 s[sgprWorkGroup1], s63                // wg1 >= nwg1-1
s_cselect_b32 s62, s62, 0                          // set rMT1
s_cmpk_gt_u32 s62, 0x0                             // rMT1 > 0
s_cbranch_scc1 GW_B0_E1_25                         // jump if edges required
GW_B0_E0_22:

/* edge=0, allocate 2 sgpr. perBatchTmpS=2 perBatchMaskS=0 perElementMaskS=0 elementsPerBatch=2 */
/* optSingleColVgpr=1 optSharedColVgpr=0 optSGPRUsage=BufferLoad_Mask optSrdIncForRow=1 */

/******************************************/
/* Global Write Alpha Batch #0 (d1,d0,vc1,vc0) = */
/*    (0,0,0,0:vw1); (1,0,0,0:vw1)        */
/******************************************/

/* calc coords, apply mask, and issue loads (if necessary) */
/* (d1,vc1,d0,vc0)=(0,0,0,0) */
/* (d1,vc1,d0,vc0)=(1,0,0,0) */
_v_add_lshl_u32 v86, v83, v80, 0x4                 // optSingleColVgpr scaleToBpe: sharedAddrVgpr <- cinRowPtr + coord0, scaled by BPE. BSHERE:coord0=80, coord0Vgpr=80
v_mov_b32 v[vgprValuC+88], v[vgprValuC+0] // copy MI out reg to vreg[0]
v_mov_b32 v[vgprValuC+89], v[vgprValuC+1] // copy MI out reg to vreg[1]
	;; [unrolled: 1-line block ×8, first 2 shown]

/* rC *= alpha batchElements=[(0, 0, 0, 0), (1, 0, 0, 0)] */

/* apply mask, calc new C and issue writes */
_buffer_store_b128 v[88:91], v86, s[sgprSrdD:sgprSrdD+3], 0, offen, offset:0 // store D
s_mul_i32 s10, s[sgprStrideD1J], 64                // scale StrideD *= numRows(4) * bpe
s_add_u32  s[sgprSrdD+0], s[sgprSrdD+0], s10       // incToNextRow: gra SRD += inc(lower)
s_addc_u32  s[sgprSrdD+1], s[sgprSrdD+1], 0        // incToNextRow: gra SRD += inc(upper)
_buffer_store_b128 v[92:95], v86, s[sgprSrdD:sgprSrdD+3], 0, offen, offset:0 // store D
s_nop 0                                            // 1 wait state required when next inst writes vgprs held by previous dwordx4 store inst
/* optSingleColVgpr=1 optSharedColVgpr=0 optSGPRUsage=BufferLoad_Mask optSrdIncForRow=1 */

/******************************************/
/* Global Write Alpha Batch #1 (d1,d0,vc1,vc0) = */
/*    (2,0,0,0:vw1); (3,0,0,0:vw1)        */
/******************************************/

/* calc coords, apply mask, and issue loads (if necessary) */
/* (d1,vc1,d0,vc0)=(2,0,0,0) */
/* (d1,vc1,d0,vc0)=(3,0,0,0) */
v_mov_b32 v[vgprValuC+88], v[vgprValuC+4] // copy MI out reg to vreg[8]
v_mov_b32 v[vgprValuC+89], v[vgprValuC+5] // copy MI out reg to vreg[9]
v_mov_b32 v[vgprValuC+90], v[vgprValuC+44] // copy MI out reg to vreg[10]
v_mov_b32 v[vgprValuC+91], v[vgprValuC+45] // copy MI out reg to vreg[11]
v_mov_b32 v[vgprValuC+92], v[vgprValuC+6] // copy MI out reg to vreg[12]
v_mov_b32 v[vgprValuC+93], v[vgprValuC+7] // copy MI out reg to vreg[13]
v_mov_b32 v[vgprValuC+94], v[vgprValuC+46] // copy MI out reg to vreg[14]
v_mov_b32 v[vgprValuC+95], v[vgprValuC+47] // copy MI out reg to vreg[15]

/* rC *= alpha batchElements=[(2, 0, 0, 0), (3, 0, 0, 0)] */

/* apply mask, calc new C and issue writes */
s_mul_i32 s10, s[sgprStrideD1J], 64                // scale StrideD *= numRows(4) * bpe
s_add_u32  s[sgprSrdD+0], s[sgprSrdD+0], s10       // incToNextRow: gra SRD += inc(lower)
s_addc_u32  s[sgprSrdD+1], s[sgprSrdD+1], 0        // incToNextRow: gra SRD += inc(upper)
_buffer_store_b128 v[88:91], v86, s[sgprSrdD:sgprSrdD+3], 0, offen, offset:0 // store D
s_mul_i32 s10, s[sgprStrideD1J], 64                // scale StrideD *= numRows(4) * bpe
s_add_u32  s[sgprSrdD+0], s[sgprSrdD+0], s10       // incToNextRow: gra SRD += inc(lower)
s_addc_u32  s[sgprSrdD+1], s[sgprSrdD+1], 0        // incToNextRow: gra SRD += inc(upper)
_buffer_store_b128 v[92:95], v86, s[sgprSrdD:sgprSrdD+3], 0, offen, offset:0 // store D
s_nop 0                                            // 1 wait state required when next inst writes vgprs held by previous dwordx4 store inst
/* optSingleColVgpr=1 optSharedColVgpr=0 optSGPRUsage=BufferLoad_Mask optSrdIncForRow=1 */

/******************************************/
/* Global Write Alpha Batch #2 (d1,d0,vc1,vc0) = */
/*    (4,0,0,0:vw1); (5,0,0,0:vw1)        */
/******************************************/

/* calc coords, apply mask, and issue loads (if necessary) */
/* (d1,vc1,d0,vc0)=(4,0,0,0) */
/* (d1,vc1,d0,vc0)=(5,0,0,0) */
v_mov_b32 v[vgprValuC+88], v[vgprValuC+8] // copy MI out reg to vreg[16]
v_mov_b32 v[vgprValuC+89], v[vgprValuC+9] // copy MI out reg to vreg[17]
v_mov_b32 v[vgprValuC+90], v[vgprValuC+48] // copy MI out reg to vreg[18]
v_mov_b32 v[vgprValuC+91], v[vgprValuC+49] // copy MI out reg to vreg[19]
v_mov_b32 v[vgprValuC+92], v[vgprValuC+10] // copy MI out reg to vreg[20]
v_mov_b32 v[vgprValuC+93], v[vgprValuC+11] // copy MI out reg to vreg[21]
v_mov_b32 v[vgprValuC+94], v[vgprValuC+50] // copy MI out reg to vreg[22]
v_mov_b32 v[vgprValuC+95], v[vgprValuC+51] // copy MI out reg to vreg[23]

/* rC *= alpha batchElements=[(4, 0, 0, 0), (5, 0, 0, 0)] */

/* apply mask, calc new C and issue writes */
s_mul_i32 s10, s[sgprStrideD1J], 64                // scale StrideD *= numRows(4) * bpe
s_add_u32  s[sgprSrdD+0], s[sgprSrdD+0], s10       // incToNextRow: gra SRD += inc(lower)
s_addc_u32  s[sgprSrdD+1], s[sgprSrdD+1], 0        // incToNextRow: gra SRD += inc(upper)
	;; [unrolled: 31-line block ×4, first 2 shown]
_buffer_store_b128 v[88:91], v86, s[sgprSrdD:sgprSrdD+3], 0, offen, offset:0 // store D
s_mul_i32 s10, s[sgprStrideD1J], 64                // scale StrideD *= numRows(4) * bpe
s_add_u32  s[sgprSrdD+0], s[sgprSrdD+0], s10       // incToNextRow: gra SRD += inc(lower)
s_addc_u32  s[sgprSrdD+1], s[sgprSrdD+1], 0        // incToNextRow: gra SRD += inc(upper)
_buffer_store_b128 v[92:95], v86, s[sgprSrdD:sgprSrdD+3], 0, offen, offset:0 // store D
s_nop 0                                            // 1 wait state required when next inst writes vgprs held by previous dwordx4 store inst
/* optSingleColVgpr=1 optSharedColVgpr=0 optSGPRUsage=BufferLoad_Mask optSrdIncForRow=1 */

/******************************************/
/* Global Write Alpha Batch #5 (d1,d0,vc1,vc0) = */
/*    (10,0,0,0:vw1); (11,0,0,0:vw1)      */
/******************************************/

/* calc coords, apply mask, and issue loads (if necessary) */
/* (d1,vc1,d0,vc0)=(10,0,0,0) */
/* (d1,vc1,d0,vc0)=(11,0,0,0) */
v_mov_b32 v[vgprValuC+88], v[vgprValuC+20] // copy MI out reg to vreg[40]
v_mov_b32 v[vgprValuC+89], v[vgprValuC+21] // copy MI out reg to vreg[41]
v_mov_b32 v[vgprValuC+90], v[vgprValuC+60] // copy MI out reg to vreg[42]
v_mov_b32 v[vgprValuC+91], v[vgprValuC+61] // copy MI out reg to vreg[43]
v_mov_b32 v[vgprValuC+92], v[vgprValuC+22] // copy MI out reg to vreg[44]
v_mov_b32 v[vgprValuC+93], v[vgprValuC+23] // copy MI out reg to vreg[45]
v_mov_b32 v[vgprValuC+94], v[vgprValuC+62] // copy MI out reg to vreg[46]
v_mov_b32 v[vgprValuC+95], v[vgprValuC+63] // copy MI out reg to vreg[47]

/* rC *= alpha batchElements=[(10, 0, 0, 0), (11, 0, 0, 0)] */

/* apply mask, calc new C and issue writes */
s_mul_i32 s10, s[sgprStrideD1J], 64                // scale StrideD *= numRows(4) * bpe
s_add_u32  s[sgprSrdD+0], s[sgprSrdD+0], s10       // incToNextRow: gra SRD += inc(lower)
s_addc_u32  s[sgprSrdD+1], s[sgprSrdD+1], 0        // incToNextRow: gra SRD += inc(upper)
_buffer_store_b128 v[88:91], v86, s[sgprSrdD:sgprSrdD+3], 0, offen, offset:0 // store D
s_mul_i32 s10, s[sgprStrideD1J], 64                // scale StrideD *= numRows(4) * bpe
s_add_u32  s[sgprSrdD+0], s[sgprSrdD+0], s10       // incToNextRow: gra SRD += inc(lower)
s_addc_u32  s[sgprSrdD+1], s[sgprSrdD+1], 0        // incToNextRow: gra SRD += inc(upper)
_buffer_store_b128 v[92:95], v86, s[sgprSrdD:sgprSrdD+3], 0, offen, offset:0 // store D
s_nop 0                                            // 1 wait state required when next inst writes vgprs held by previous dwordx4 store inst
/* optSingleColVgpr=1 optSharedColVgpr=0 optSGPRUsage=BufferLoad_Mask optSrdIncForRow=1 */

/******************************************/
/* Global Write Alpha Batch #6 (d1,d0,vc1,vc0) = */
/*    (12,0,0,0:vw1); (13,0,0,0:vw1)      */
/******************************************/

/* calc coords, apply mask, and issue loads (if necessary) */
/* (d1,vc1,d0,vc0)=(12,0,0,0) */
/* (d1,vc1,d0,vc0)=(13,0,0,0) */
v_mov_b32 v[vgprValuC+88], v[vgprValuC+24] // copy MI out reg to vreg[48]
v_mov_b32 v[vgprValuC+89], v[vgprValuC+25] // copy MI out reg to vreg[49]
v_mov_b32 v[vgprValuC+90], v[vgprValuC+64] // copy MI out reg to vreg[50]
v_mov_b32 v[vgprValuC+91], v[vgprValuC+65] // copy MI out reg to vreg[51]
v_mov_b32 v[vgprValuC+92], v[vgprValuC+26] // copy MI out reg to vreg[52]
v_mov_b32 v[vgprValuC+93], v[vgprValuC+27] // copy MI out reg to vreg[53]
v_mov_b32 v[vgprValuC+94], v[vgprValuC+66] // copy MI out reg to vreg[54]
v_mov_b32 v[vgprValuC+95], v[vgprValuC+67] // copy MI out reg to vreg[55]

/* rC *= alpha batchElements=[(12, 0, 0, 0), (13, 0, 0, 0)] */

/* apply mask, calc new C and issue writes */
s_mul_i32 s10, s[sgprStrideD1J], 64                // scale StrideD *= numRows(4) * bpe
s_add_u32  s[sgprSrdD+0], s[sgprSrdD+0], s10       // incToNextRow: gra SRD += inc(lower)
s_addc_u32  s[sgprSrdD+1], s[sgprSrdD+1], 0        // incToNextRow: gra SRD += inc(upper)
_buffer_store_b128 v[88:91], v86, s[sgprSrdD:sgprSrdD+3], 0, offen, offset:0 // store D
s_mul_i32 s10, s[sgprStrideD1J], 64                // scale StrideD *= numRows(4) * bpe
s_add_u32  s[sgprSrdD+0], s[sgprSrdD+0], s10       // incToNextRow: gra SRD += inc(lower)
s_addc_u32  s[sgprSrdD+1], s[sgprSrdD+1], 0        // incToNextRow: gra SRD += inc(upper)
_buffer_store_b128 v[92:95], v86, s[sgprSrdD:sgprSrdD+3], 0, offen, offset:0 // store D
s_nop 0                                            // 1 wait state required when next inst writes vgprs held by previous dwordx4 store inst
/* optSingleColVgpr=1 optSharedColVgpr=0 optSGPRUsage=BufferLoad_Mask optSrdIncForRow=1 */

/******************************************/
/* Global Write Alpha Batch #7 (d1,d0,vc1,vc0) = */
/*    (14,0,0,0:vw1); (15,0,0,0:vw1)      */
/******************************************/

/* calc coords, apply mask, and issue loads (if necessary) */
/* (d1,vc1,d0,vc0)=(14,0,0,0) */
/* (d1,vc1,d0,vc0)=(15,0,0,0) */
v_mov_b32 v[vgprValuC+88], v[vgprValuC+28] // copy MI out reg to vreg[56]
v_mov_b32 v[vgprValuC+89], v[vgprValuC+29] // copy MI out reg to vreg[57]
v_mov_b32 v[vgprValuC+90], v[vgprValuC+68] // copy MI out reg to vreg[58]
v_mov_b32 v[vgprValuC+91], v[vgprValuC+69] // copy MI out reg to vreg[59]
v_mov_b32 v[vgprValuC+92], v[vgprValuC+30] // copy MI out reg to vreg[60]
v_mov_b32 v[vgprValuC+93], v[vgprValuC+31] // copy MI out reg to vreg[61]
v_mov_b32 v[vgprValuC+94], v[vgprValuC+70] // copy MI out reg to vreg[62]
v_mov_b32 v[vgprValuC+95], v[vgprValuC+71] // copy MI out reg to vreg[63]

/* rC *= alpha batchElements=[(14, 0, 0, 0), (15, 0, 0, 0)] */

/* apply mask, calc new C and issue writes */
s_mul_i32 s10, s[sgprStrideD1J], 64                // scale StrideD *= numRows(4) * bpe
s_add_u32  s[sgprSrdD+0], s[sgprSrdD+0], s10       // incToNextRow: gra SRD += inc(lower)
s_addc_u32  s[sgprSrdD+1], s[sgprSrdD+1], 0        // incToNextRow: gra SRD += inc(upper)
_buffer_store_b128 v[88:91], v86, s[sgprSrdD:sgprSrdD+3], 0, offen, offset:0 // store D
s_mul_i32 s10, s[sgprStrideD1J], 64                // scale StrideD *= numRows(4) * bpe
s_add_u32  s[sgprSrdD+0], s[sgprSrdD+0], s10       // incToNextRow: gra SRD += inc(lower)
s_addc_u32  s[sgprSrdD+1], s[sgprSrdD+1], 0        // incToNextRow: gra SRD += inc(upper)
_buffer_store_b128 v[92:95], v86, s[sgprSrdD:sgprSrdD+3], 0, offen, offset:0 // store D
s_nop 0                                            // 1 wait state required when next inst writes vgprs held by previous dwordx4 store inst
/* optSingleColVgpr=1 optSharedColVgpr=0 optSGPRUsage=BufferLoad_Mask optSrdIncForRow=1 */

/******************************************/
/* Global Write Alpha Batch #8 (d1,d0,vc1,vc0) = */
/*    (16,0,0,0:vw1); (17,0,0,0:vw1)      */
/******************************************/

/* calc coords, apply mask, and issue loads (if necessary) */
/* (d1,vc1,d0,vc0)=(16,0,0,0) */
/* (d1,vc1,d0,vc0)=(17,0,0,0) */
v_mov_b32 v[vgprValuC+88], v[vgprValuC+32] // copy MI out reg to vreg[64]
v_mov_b32 v[vgprValuC+89], v[vgprValuC+33] // copy MI out reg to vreg[65]
v_mov_b32 v[vgprValuC+90], v[vgprValuC+72] // copy MI out reg to vreg[66]
v_mov_b32 v[vgprValuC+91], v[vgprValuC+73] // copy MI out reg to vreg[67]
v_mov_b32 v[vgprValuC+92], v[vgprValuC+34] // copy MI out reg to vreg[68]
v_mov_b32 v[vgprValuC+93], v[vgprValuC+35] // copy MI out reg to vreg[69]
v_mov_b32 v[vgprValuC+94], v[vgprValuC+74] // copy MI out reg to vreg[70]
v_mov_b32 v[vgprValuC+95], v[vgprValuC+75] // copy MI out reg to vreg[71]

/* rC *= alpha batchElements=[(16, 0, 0, 0), (17, 0, 0, 0)] */

/* apply mask, calc new C and issue writes */
s_mul_i32 s10, s[sgprStrideD1J], 64                // scale StrideD *= numRows(4) * bpe
s_add_u32  s[sgprSrdD+0], s[sgprSrdD+0], s10       // incToNextRow: gra SRD += inc(lower)
s_addc_u32  s[sgprSrdD+1], s[sgprSrdD+1], 0        // incToNextRow: gra SRD += inc(upper)
_buffer_store_b128 v[88:91], v86, s[sgprSrdD:sgprSrdD+3], 0, offen, offset:0 // store D
s_mul_i32 s10, s[sgprStrideD1J], 64                // scale StrideD *= numRows(4) * bpe
s_add_u32  s[sgprSrdD+0], s[sgprSrdD+0], s10       // incToNextRow: gra SRD += inc(lower)
s_addc_u32  s[sgprSrdD+1], s[sgprSrdD+1], 0        // incToNextRow: gra SRD += inc(upper)
_buffer_store_b128 v[92:95], v86, s[sgprSrdD:sgprSrdD+3], 0, offen, offset:0 // store D
s_nop 0                                            // 1 wait state required when next inst writes vgprs held by previous dwordx4 store inst
/* optSingleColVgpr=1 optSharedColVgpr=0 optSGPRUsage=BufferLoad_Mask optSrdIncForRow=1 */

/******************************************/
/* Global Write Alpha Batch #9 (d1,d0,vc1,vc0) = */
/*    (18,0,0,0:vw1); (19,0,0,0:vw1)      */
/******************************************/

/* calc coords, apply mask, and issue loads (if necessary) */
/* (d1,vc1,d0,vc0)=(18,0,0,0) */
/* (d1,vc1,d0,vc0)=(19,0,0,0) */
v_mov_b32 v[vgprValuC+88], v[vgprValuC+36] // copy MI out reg to vreg[72]
v_mov_b32 v[vgprValuC+89], v[vgprValuC+37] // copy MI out reg to vreg[73]
v_mov_b32 v[vgprValuC+90], v[vgprValuC+76] // copy MI out reg to vreg[74]
v_mov_b32 v[vgprValuC+91], v[vgprValuC+77] // copy MI out reg to vreg[75]
v_mov_b32 v[vgprValuC+92], v[vgprValuC+38] // copy MI out reg to vreg[76]
v_mov_b32 v[vgprValuC+93], v[vgprValuC+39] // copy MI out reg to vreg[77]
v_mov_b32 v[vgprValuC+94], v[vgprValuC+78] // copy MI out reg to vreg[78]
v_mov_b32 v[vgprValuC+95], v[vgprValuC+79] // copy MI out reg to vreg[79]

/* rC *= alpha batchElements=[(18, 0, 0, 0), (19, 0, 0, 0)] */

/* apply mask, calc new C and issue writes */
s_mul_i32 s10, s[sgprStrideD1J], 64                // scale StrideD *= numRows(4) * bpe
s_add_u32  s[sgprSrdD+0], s[sgprSrdD+0], s10       // incToNextRow: gra SRD += inc(lower)
s_addc_u32  s[sgprSrdD+1], s[sgprSrdD+1], 0        // incToNextRow: gra SRD += inc(upper)
_buffer_store_b128 v[88:91], v86, s[sgprSrdD:sgprSrdD+3], 0, offen, offset:0 // store D
s_mul_i32 s10, s[sgprStrideD1J], 64                // scale StrideD *= numRows(4) * bpe
s_add_u32  s[sgprSrdD+0], s[sgprSrdD+0], s10       // incToNextRow: gra SRD += inc(lower)
s_addc_u32  s[sgprSrdD+1], s[sgprSrdD+1], 0        // incToNextRow: gra SRD += inc(upper)
_buffer_store_b128 v[92:95], v86, s[sgprSrdD:sgprSrdD+3], 0, offen, offset:0 // store D
s_nop 0                                            // 1 wait state required when next inst writes vgprs held by previous dwordx4 store inst
s_branch label_GW_End_27                           // jump to end
GW_B0_E1_25:

/* edge=1, allocate 6 sgpr. perBatchTmpS=4 perBatchMaskS=2 perElementMaskS=0 elementsPerBatch=2 */
/* optSingleColVgpr=0 optSharedColVgpr=0 optSGPRUsage=BufferLoad_Edge_Mask optSrdIncForRow=0 */

/******************************************/
/* Global Write Alpha Edge Batch #0 (d1,d0,vc1,vc0) = */
/*    (0,0,0,0:vw1); (1,0,0,0:vw1)        */
/******************************************/

/* calc coords, apply mask, and issue loads (if necessary) */
/* (d1,vc1,d0,vc0)=(0,0,0,0) */
v_cmp_lt_u32 s[62:63], v80, s[sgprSizeI]           // coord0 < size0
v_cmp_lt_u32 s[66:67], v81, s[sgprSizeJ]           // coord1 < size1
s_and_b64 s[66:67], s[62:63], s[66:67]             // in0 && in1
_v_add_lshl_u32 v86, v83, v80, 0x4                 // scaleToBpe: accumulate d0 lower and *= bpe into Cin addr
v_cndmask_b32 v86, -1, v86, s[66:67]               // LDD clip if OOB. offset
/* (d1,vc1,d0,vc0)=(1,0,0,0) */
_v_add_co_u32 v81, vcc, v81, 4                     // coord1.1: coord1Vgpr += d1*sg1*VW + vc1

/* Fix for UseInitialStridesCD, emitAddressSetupCode */
s_mul_i32 s62, s[sgprStrideC1J], 4                 // scale stride
_v_add_u32 v82, v82, s62                           // ROWINC- Move cinRowPtr to next row
s_mul_i32 s62, s[sgprStrideD1J], 4                 // scale stride
_v_add_u32 v83, v83, s62                           // Move coutRowPtr to next row
v_cmp_lt_u32 s[62:63], v80, s[sgprSizeI]           // coord0 < size0
v_cmp_lt_u32 s[66:67], v81, s[sgprSizeJ]           // coord1 < size1
s_and_b64 s[66:67], s[62:63], s[66:67]             // in0 && in1
_v_add_lshl_u32 v87, v83, v80, 0x4                 // scaleToBpe: accumulate d0 lower and *= bpe into Cin addr
v_cndmask_b32 v87, -1, v87, s[66:67]               // LDD clip if OOB. offset
v_mov_b32 v[vgprValuC+88], v[vgprValuC+0] // copy MI out reg to vreg[0]
v_mov_b32 v[vgprValuC+89], v[vgprValuC+1] // copy MI out reg to vreg[1]
v_mov_b32 v[vgprValuC+90], v[vgprValuC+40] // copy MI out reg to vreg[2]
v_mov_b32 v[vgprValuC+91], v[vgprValuC+41] // copy MI out reg to vreg[3]
v_mov_b32 v[vgprValuC+92], v[vgprValuC+2] // copy MI out reg to vreg[4]
v_mov_b32 v[vgprValuC+93], v[vgprValuC+3] // copy MI out reg to vreg[5]
v_mov_b32 v[vgprValuC+94], v[vgprValuC+42] // copy MI out reg to vreg[6]
v_mov_b32 v[vgprValuC+95], v[vgprValuC+43] // copy MI out reg to vreg[7]

/* rC *= alpha batchElements=[(0, 0, 0, 0), (1, 0, 0, 0)] */

/* apply mask, calc new C and issue writes */
_buffer_store_b128 v[88:91], v86, s[sgprSrdD:sgprSrdD+3], 0, offen, offset:0 // store D
_buffer_store_b128 v[92:95], v87, s[sgprSrdD:sgprSrdD+3], 0, offen, offset:0 // store D
s_nop 0                                            // 1 wait state required when next inst writes vgprs held by previous dwordx4 store inst
/* optSingleColVgpr=0 optSharedColVgpr=0 optSGPRUsage=BufferLoad_Edge_Mask optSrdIncForRow=0 */

/******************************************/
/* Global Write Alpha Edge Batch #1 (d1,d0,vc1,vc0) = */
/*    (2,0,0,0:vw1); (3,0,0,0:vw1)        */
/******************************************/

/* calc coords, apply mask, and issue loads (if necessary) */
/* (d1,vc1,d0,vc0)=(2,0,0,0) */
_v_add_co_u32 v81, vcc, v81, 4                     // coord1.1: coord1Vgpr += d1*sg1*VW + vc1

/* Fix for UseInitialStridesCD, emitAddressSetupCode */
s_mul_i32 s62, s[sgprStrideC1J], 4                 // scale stride
_v_add_u32 v82, v82, s62                           // ROWINC- Move cinRowPtr to next row
s_mul_i32 s62, s[sgprStrideD1J], 4                 // scale stride
_v_add_u32 v83, v83, s62                           // Move coutRowPtr to next row
v_cmp_lt_u32 s[62:63], v80, s[sgprSizeI]           // coord0 < size0
v_cmp_lt_u32 s[66:67], v81, s[sgprSizeJ]           // coord1 < size1
s_and_b64 s[66:67], s[62:63], s[66:67]             // in0 && in1
_v_add_lshl_u32 v86, v83, v80, 0x4                 // scaleToBpe: accumulate d0 lower and *= bpe into Cin addr
v_cndmask_b32 v86, -1, v86, s[66:67]               // LDD clip if OOB. offset
/* (d1,vc1,d0,vc0)=(3,0,0,0) */
_v_add_co_u32 v81, vcc, v81, 4                     // coord1.1: coord1Vgpr += d1*sg1*VW + vc1

/* Fix for UseInitialStridesCD, emitAddressSetupCode */
s_mul_i32 s62, s[sgprStrideC1J], 4                 // scale stride
_v_add_u32 v82, v82, s62                           // ROWINC- Move cinRowPtr to next row
s_mul_i32 s62, s[sgprStrideD1J], 4                 // scale stride
_v_add_u32 v83, v83, s62                           // Move coutRowPtr to next row
v_cmp_lt_u32 s[62:63], v80, s[sgprSizeI]           // coord0 < size0
v_cmp_lt_u32 s[66:67], v81, s[sgprSizeJ]           // coord1 < size1
s_and_b64 s[66:67], s[62:63], s[66:67]             // in0 && in1
_v_add_lshl_u32 v87, v83, v80, 0x4                 // scaleToBpe: accumulate d0 lower and *= bpe into Cin addr
v_cndmask_b32 v87, -1, v87, s[66:67]               // LDD clip if OOB. offset
v_mov_b32 v[vgprValuC+88], v[vgprValuC+4] // copy MI out reg to vreg[8]
v_mov_b32 v[vgprValuC+89], v[vgprValuC+5] // copy MI out reg to vreg[9]
v_mov_b32 v[vgprValuC+90], v[vgprValuC+44] // copy MI out reg to vreg[10]
v_mov_b32 v[vgprValuC+91], v[vgprValuC+45] // copy MI out reg to vreg[11]
v_mov_b32 v[vgprValuC+92], v[vgprValuC+6] // copy MI out reg to vreg[12]
v_mov_b32 v[vgprValuC+93], v[vgprValuC+7] // copy MI out reg to vreg[13]
v_mov_b32 v[vgprValuC+94], v[vgprValuC+46] // copy MI out reg to vreg[14]
v_mov_b32 v[vgprValuC+95], v[vgprValuC+47] // copy MI out reg to vreg[15]

/* rC *= alpha batchElements=[(2, 0, 0, 0), (3, 0, 0, 0)] */

/* apply mask, calc new C and issue writes */
_buffer_store_b128 v[88:91], v86, s[sgprSrdD:sgprSrdD+3], 0, offen, offset:0 // store D
_buffer_store_b128 v[92:95], v87, s[sgprSrdD:sgprSrdD+3], 0, offen, offset:0 // store D
s_nop 0                                            // 1 wait state required when next inst writes vgprs held by previous dwordx4 store inst
/* optSingleColVgpr=0 optSharedColVgpr=0 optSGPRUsage=BufferLoad_Edge_Mask optSrdIncForRow=0 */

/******************************************/
/* Global Write Alpha Edge Batch #2 (d1,d0,vc1,vc0) = */
/*    (4,0,0,0:vw1); (5,0,0,0:vw1)        */
/******************************************/

/* calc coords, apply mask, and issue loads (if necessary) */
/* (d1,vc1,d0,vc0)=(4,0,0,0) */
_v_add_co_u32 v81, vcc, v81, 4                     // coord1.1: coord1Vgpr += d1*sg1*VW + vc1

/* Fix for UseInitialStridesCD, emitAddressSetupCode */
s_mul_i32 s62, s[sgprStrideC1J], 4                 // scale stride
_v_add_u32 v82, v82, s62                           // ROWINC- Move cinRowPtr to next row
s_mul_i32 s62, s[sgprStrideD1J], 4                 // scale stride
_v_add_u32 v83, v83, s62                           // Move coutRowPtr to next row
v_cmp_lt_u32 s[62:63], v80, s[sgprSizeI]           // coord0 < size0
v_cmp_lt_u32 s[66:67], v81, s[sgprSizeJ]           // coord1 < size1
s_and_b64 s[66:67], s[62:63], s[66:67]             // in0 && in1
_v_add_lshl_u32 v86, v83, v80, 0x4                 // scaleToBpe: accumulate d0 lower and *= bpe into Cin addr
v_cndmask_b32 v86, -1, v86, s[66:67]               // LDD clip if OOB. offset
/* (d1,vc1,d0,vc0)=(5,0,0,0) */
_v_add_co_u32 v81, vcc, v81, 4                     // coord1.1: coord1Vgpr += d1*sg1*VW + vc1

/* Fix for UseInitialStridesCD, emitAddressSetupCode */
s_mul_i32 s62, s[sgprStrideC1J], 4                 // scale stride
_v_add_u32 v82, v82, s62                           // ROWINC- Move cinRowPtr to next row
s_mul_i32 s62, s[sgprStrideD1J], 4                 // scale stride
_v_add_u32 v83, v83, s62                           // Move coutRowPtr to next row
v_cmp_lt_u32 s[62:63], v80, s[sgprSizeI]           // coord0 < size0
v_cmp_lt_u32 s[66:67], v81, s[sgprSizeJ]           // coord1 < size1
s_and_b64 s[66:67], s[62:63], s[66:67]             // in0 && in1
_v_add_lshl_u32 v87, v83, v80, 0x4                 // scaleToBpe: accumulate d0 lower and *= bpe into Cin addr
v_cndmask_b32 v87, -1, v87, s[66:67]               // LDD clip if OOB. offset
v_mov_b32 v[vgprValuC+88], v[vgprValuC+8] // copy MI out reg to vreg[16]
v_mov_b32 v[vgprValuC+89], v[vgprValuC+9] // copy MI out reg to vreg[17]
v_mov_b32 v[vgprValuC+90], v[vgprValuC+48] // copy MI out reg to vreg[18]
v_mov_b32 v[vgprValuC+91], v[vgprValuC+49] // copy MI out reg to vreg[19]
v_mov_b32 v[vgprValuC+92], v[vgprValuC+10] // copy MI out reg to vreg[20]
v_mov_b32 v[vgprValuC+93], v[vgprValuC+11] // copy MI out reg to vreg[21]
v_mov_b32 v[vgprValuC+94], v[vgprValuC+50] // copy MI out reg to vreg[22]
v_mov_b32 v[vgprValuC+95], v[vgprValuC+51] // copy MI out reg to vreg[23]

/* rC *= alpha batchElements=[(4, 0, 0, 0), (5, 0, 0, 0)] */

/* apply mask, calc new C and issue writes */
_buffer_store_b128 v[88:91], v86, s[sgprSrdD:sgprSrdD+3], 0, offen, offset:0 // store D
_buffer_store_b128 v[92:95], v87, s[sgprSrdD:sgprSrdD+3], 0, offen, offset:0 // store D
s_nop 0                                            // 1 wait state required when next inst writes vgprs held by previous dwordx4 store inst
/* optSingleColVgpr=0 optSharedColVgpr=0 optSGPRUsage=BufferLoad_Edge_Mask optSrdIncForRow=0 */

/******************************************/
/* Global Write Alpha Edge Batch #3 (d1,d0,vc1,vc0) = */
/*    (6,0,0,0:vw1); (7,0,0,0:vw1)        */
/******************************************/

/* calc coords, apply mask, and issue loads (if necessary) */
/* (d1,vc1,d0,vc0)=(6,0,0,0) */
_v_add_co_u32 v81, vcc, v81, 4                     // coord1.1: coord1Vgpr += d1*sg1*VW + vc1

/* Fix for UseInitialStridesCD, emitAddressSetupCode */
s_mul_i32 s62, s[sgprStrideC1J], 4                 // scale stride
_v_add_u32 v82, v82, s62                           // ROWINC- Move cinRowPtr to next row
s_mul_i32 s62, s[sgprStrideD1J], 4                 // scale stride
_v_add_u32 v83, v83, s62                           // Move coutRowPtr to next row
v_cmp_lt_u32 s[62:63], v80, s[sgprSizeI]           // coord0 < size0
v_cmp_lt_u32 s[66:67], v81, s[sgprSizeJ]           // coord1 < size1
s_and_b64 s[66:67], s[62:63], s[66:67]             // in0 && in1
_v_add_lshl_u32 v86, v83, v80, 0x4                 // scaleToBpe: accumulate d0 lower and *= bpe into Cin addr
v_cndmask_b32 v86, -1, v86, s[66:67]               // LDD clip if OOB. offset
/* (d1,vc1,d0,vc0)=(7,0,0,0) */
_v_add_co_u32 v81, vcc, v81, 4                     // coord1.1: coord1Vgpr += d1*sg1*VW + vc1

/* Fix for UseInitialStridesCD, emitAddressSetupCode */
s_mul_i32 s62, s[sgprStrideC1J], 4                 // scale stride
_v_add_u32 v82, v82, s62                           // ROWINC- Move cinRowPtr to next row
s_mul_i32 s62, s[sgprStrideD1J], 4                 // scale stride
_v_add_u32 v83, v83, s62                           // Move coutRowPtr to next row
v_cmp_lt_u32 s[62:63], v80, s[sgprSizeI]           // coord0 < size0
v_cmp_lt_u32 s[66:67], v81, s[sgprSizeJ]           // coord1 < size1
s_and_b64 s[66:67], s[62:63], s[66:67]             // in0 && in1
_v_add_lshl_u32 v87, v83, v80, 0x4                 // scaleToBpe: accumulate d0 lower and *= bpe into Cin addr
v_cndmask_b32 v87, -1, v87, s[66:67]               // LDD clip if OOB. offset
v_mov_b32 v[vgprValuC+88], v[vgprValuC+12] // copy MI out reg to vreg[24]
v_mov_b32 v[vgprValuC+89], v[vgprValuC+13] // copy MI out reg to vreg[25]
v_mov_b32 v[vgprValuC+90], v[vgprValuC+52] // copy MI out reg to vreg[26]
v_mov_b32 v[vgprValuC+91], v[vgprValuC+53] // copy MI out reg to vreg[27]
v_mov_b32 v[vgprValuC+92], v[vgprValuC+14] // copy MI out reg to vreg[28]
v_mov_b32 v[vgprValuC+93], v[vgprValuC+15] // copy MI out reg to vreg[29]
v_mov_b32 v[vgprValuC+94], v[vgprValuC+54] // copy MI out reg to vreg[30]
v_mov_b32 v[vgprValuC+95], v[vgprValuC+55] // copy MI out reg to vreg[31]

/* rC *= alpha batchElements=[(6, 0, 0, 0), (7, 0, 0, 0)] */

/* apply mask, calc new C and issue writes */
_buffer_store_b128 v[88:91], v86, s[sgprSrdD:sgprSrdD+3], 0, offen, offset:0 // store D
_buffer_store_b128 v[92:95], v87, s[sgprSrdD:sgprSrdD+3], 0, offen, offset:0 // store D
s_nop 0                                            // 1 wait state required when next inst writes vgprs held by previous dwordx4 store inst
/* optSingleColVgpr=0 optSharedColVgpr=0 optSGPRUsage=BufferLoad_Edge_Mask optSrdIncForRow=0 */

/******************************************/
/* Global Write Alpha Edge Batch #4 (d1,d0,vc1,vc0) = */
/*    (8,0,0,0:vw1); (9,0,0,0:vw1)        */
/******************************************/

/* calc coords, apply mask, and issue loads (if necessary) */
/* (d1,vc1,d0,vc0)=(8,0,0,0) */
_v_add_co_u32 v81, vcc, v81, 4                     // coord1.1: coord1Vgpr += d1*sg1*VW + vc1

/* Fix for UseInitialStridesCD, emitAddressSetupCode */
s_mul_i32 s62, s[sgprStrideC1J], 4                 // scale stride
_v_add_u32 v82, v82, s62                           // ROWINC- Move cinRowPtr to next row
s_mul_i32 s62, s[sgprStrideD1J], 4                 // scale stride
_v_add_u32 v83, v83, s62                           // Move coutRowPtr to next row
v_cmp_lt_u32 s[62:63], v80, s[sgprSizeI]           // coord0 < size0
v_cmp_lt_u32 s[66:67], v81, s[sgprSizeJ]           // coord1 < size1
s_and_b64 s[66:67], s[62:63], s[66:67]             // in0 && in1
_v_add_lshl_u32 v86, v83, v80, 0x4                 // scaleToBpe: accumulate d0 lower and *= bpe into Cin addr
v_cndmask_b32 v86, -1, v86, s[66:67]               // LDD clip if OOB. offset
/* (d1,vc1,d0,vc0)=(9,0,0,0) */
_v_add_co_u32 v81, vcc, v81, 4                     // coord1.1: coord1Vgpr += d1*sg1*VW + vc1

/* Fix for UseInitialStridesCD, emitAddressSetupCode */
s_mul_i32 s62, s[sgprStrideC1J], 4                 // scale stride
_v_add_u32 v82, v82, s62                           // ROWINC- Move cinRowPtr to next row
s_mul_i32 s62, s[sgprStrideD1J], 4                 // scale stride
_v_add_u32 v83, v83, s62                           // Move coutRowPtr to next row
v_cmp_lt_u32 s[62:63], v80, s[sgprSizeI]           // coord0 < size0
v_cmp_lt_u32 s[66:67], v81, s[sgprSizeJ]           // coord1 < size1
s_and_b64 s[66:67], s[62:63], s[66:67]             // in0 && in1
_v_add_lshl_u32 v87, v83, v80, 0x4                 // scaleToBpe: accumulate d0 lower and *= bpe into Cin addr
v_cndmask_b32 v87, -1, v87, s[66:67]               // LDD clip if OOB. offset
v_mov_b32 v[vgprValuC+88], v[vgprValuC+16] // copy MI out reg to vreg[32]
v_mov_b32 v[vgprValuC+89], v[vgprValuC+17] // copy MI out reg to vreg[33]
v_mov_b32 v[vgprValuC+90], v[vgprValuC+56] // copy MI out reg to vreg[34]
v_mov_b32 v[vgprValuC+91], v[vgprValuC+57] // copy MI out reg to vreg[35]
v_mov_b32 v[vgprValuC+92], v[vgprValuC+18] // copy MI out reg to vreg[36]
v_mov_b32 v[vgprValuC+93], v[vgprValuC+19] // copy MI out reg to vreg[37]
v_mov_b32 v[vgprValuC+94], v[vgprValuC+58] // copy MI out reg to vreg[38]
v_mov_b32 v[vgprValuC+95], v[vgprValuC+59] // copy MI out reg to vreg[39]

/* rC *= alpha batchElements=[(8, 0, 0, 0), (9, 0, 0, 0)] */

/* apply mask, calc new C and issue writes */
_buffer_store_b128 v[88:91], v86, s[sgprSrdD:sgprSrdD+3], 0, offen, offset:0 // store D
_buffer_store_b128 v[92:95], v87, s[sgprSrdD:sgprSrdD+3], 0, offen, offset:0 // store D
s_nop 0                                            // 1 wait state required when next inst writes vgprs held by previous dwordx4 store inst
/* optSingleColVgpr=0 optSharedColVgpr=0 optSGPRUsage=BufferLoad_Edge_Mask optSrdIncForRow=0 */

/******************************************/
/* Global Write Alpha Edge Batch #5 (d1,d0,vc1,vc0) = */
/*    (10,0,0,0:vw1); (11,0,0,0:vw1)      */
/******************************************/

/* calc coords, apply mask, and issue loads (if necessary) */
/* (d1,vc1,d0,vc0)=(10,0,0,0) */
_v_add_co_u32 v81, vcc, v81, 4                     // coord1.1: coord1Vgpr += d1*sg1*VW + vc1

/* Fix for UseInitialStridesCD, emitAddressSetupCode */
s_mul_i32 s62, s[sgprStrideC1J], 4                 // scale stride
_v_add_u32 v82, v82, s62                           // ROWINC- Move cinRowPtr to next row
s_mul_i32 s62, s[sgprStrideD1J], 4                 // scale stride
_v_add_u32 v83, v83, s62                           // Move coutRowPtr to next row
v_cmp_lt_u32 s[62:63], v80, s[sgprSizeI]           // coord0 < size0
v_cmp_lt_u32 s[66:67], v81, s[sgprSizeJ]           // coord1 < size1
s_and_b64 s[66:67], s[62:63], s[66:67]             // in0 && in1
_v_add_lshl_u32 v86, v83, v80, 0x4                 // scaleToBpe: accumulate d0 lower and *= bpe into Cin addr
v_cndmask_b32 v86, -1, v86, s[66:67]               // LDD clip if OOB. offset
/* (d1,vc1,d0,vc0)=(11,0,0,0) */
_v_add_co_u32 v81, vcc, v81, 4                     // coord1.1: coord1Vgpr += d1*sg1*VW + vc1

/* Fix for UseInitialStridesCD, emitAddressSetupCode */
s_mul_i32 s62, s[sgprStrideC1J], 4                 // scale stride
_v_add_u32 v82, v82, s62                           // ROWINC- Move cinRowPtr to next row
s_mul_i32 s62, s[sgprStrideD1J], 4                 // scale stride
_v_add_u32 v83, v83, s62                           // Move coutRowPtr to next row
v_cmp_lt_u32 s[62:63], v80, s[sgprSizeI]           // coord0 < size0
v_cmp_lt_u32 s[66:67], v81, s[sgprSizeJ]           // coord1 < size1
s_and_b64 s[66:67], s[62:63], s[66:67]             // in0 && in1
_v_add_lshl_u32 v87, v83, v80, 0x4                 // scaleToBpe: accumulate d0 lower and *= bpe into Cin addr
v_cndmask_b32 v87, -1, v87, s[66:67]               // LDD clip if OOB. offset
v_mov_b32 v[vgprValuC+88], v[vgprValuC+20] // copy MI out reg to vreg[40]
v_mov_b32 v[vgprValuC+89], v[vgprValuC+21] // copy MI out reg to vreg[41]
v_mov_b32 v[vgprValuC+90], v[vgprValuC+60] // copy MI out reg to vreg[42]
v_mov_b32 v[vgprValuC+91], v[vgprValuC+61] // copy MI out reg to vreg[43]
v_mov_b32 v[vgprValuC+92], v[vgprValuC+22] // copy MI out reg to vreg[44]
v_mov_b32 v[vgprValuC+93], v[vgprValuC+23] // copy MI out reg to vreg[45]
v_mov_b32 v[vgprValuC+94], v[vgprValuC+62] // copy MI out reg to vreg[46]
v_mov_b32 v[vgprValuC+95], v[vgprValuC+63] // copy MI out reg to vreg[47]

/* rC *= alpha batchElements=[(10, 0, 0, 0), (11, 0, 0, 0)] */

/* apply mask, calc new C and issue writes */
_buffer_store_b128 v[88:91], v86, s[sgprSrdD:sgprSrdD+3], 0, offen, offset:0 // store D
_buffer_store_b128 v[92:95], v87, s[sgprSrdD:sgprSrdD+3], 0, offen, offset:0 // store D
s_nop 0                                            // 1 wait state required when next inst writes vgprs held by previous dwordx4 store inst
/* optSingleColVgpr=0 optSharedColVgpr=0 optSGPRUsage=BufferLoad_Edge_Mask optSrdIncForRow=0 */

/******************************************/
/* Global Write Alpha Edge Batch #6 (d1,d0,vc1,vc0) = */
/*    (12,0,0,0:vw1); (13,0,0,0:vw1)      */
/******************************************/

/* calc coords, apply mask, and issue loads (if necessary) */
/* (d1,vc1,d0,vc0)=(12,0,0,0) */
_v_add_co_u32 v81, vcc, v81, 4                     // coord1.1: coord1Vgpr += d1*sg1*VW + vc1

/* Fix for UseInitialStridesCD, emitAddressSetupCode */
s_mul_i32 s62, s[sgprStrideC1J], 4                 // scale stride
_v_add_u32 v82, v82, s62                           // ROWINC- Move cinRowPtr to next row
s_mul_i32 s62, s[sgprStrideD1J], 4                 // scale stride
_v_add_u32 v83, v83, s62                           // Move coutRowPtr to next row
v_cmp_lt_u32 s[62:63], v80, s[sgprSizeI]           // coord0 < size0
v_cmp_lt_u32 s[66:67], v81, s[sgprSizeJ]           // coord1 < size1
s_and_b64 s[66:67], s[62:63], s[66:67]             // in0 && in1
_v_add_lshl_u32 v86, v83, v80, 0x4                 // scaleToBpe: accumulate d0 lower and *= bpe into Cin addr
v_cndmask_b32 v86, -1, v86, s[66:67]               // LDD clip if OOB. offset
/* (d1,vc1,d0,vc0)=(13,0,0,0) */
_v_add_co_u32 v81, vcc, v81, 4                     // coord1.1: coord1Vgpr += d1*sg1*VW + vc1

/* Fix for UseInitialStridesCD, emitAddressSetupCode */
s_mul_i32 s62, s[sgprStrideC1J], 4                 // scale stride
_v_add_u32 v82, v82, s62                           // ROWINC- Move cinRowPtr to next row
s_mul_i32 s62, s[sgprStrideD1J], 4                 // scale stride
_v_add_u32 v83, v83, s62                           // Move coutRowPtr to next row
v_cmp_lt_u32 s[62:63], v80, s[sgprSizeI]           // coord0 < size0
v_cmp_lt_u32 s[66:67], v81, s[sgprSizeJ]           // coord1 < size1
s_and_b64 s[66:67], s[62:63], s[66:67]             // in0 && in1
_v_add_lshl_u32 v87, v83, v80, 0x4                 // scaleToBpe: accumulate d0 lower and *= bpe into Cin addr
v_cndmask_b32 v87, -1, v87, s[66:67]               // LDD clip if OOB. offset
v_mov_b32 v[vgprValuC+88], v[vgprValuC+24] // copy MI out reg to vreg[48]
v_mov_b32 v[vgprValuC+89], v[vgprValuC+25] // copy MI out reg to vreg[49]
v_mov_b32 v[vgprValuC+90], v[vgprValuC+64] // copy MI out reg to vreg[50]
v_mov_b32 v[vgprValuC+91], v[vgprValuC+65] // copy MI out reg to vreg[51]
v_mov_b32 v[vgprValuC+92], v[vgprValuC+26] // copy MI out reg to vreg[52]
v_mov_b32 v[vgprValuC+93], v[vgprValuC+27] // copy MI out reg to vreg[53]
v_mov_b32 v[vgprValuC+94], v[vgprValuC+66] // copy MI out reg to vreg[54]
v_mov_b32 v[vgprValuC+95], v[vgprValuC+67] // copy MI out reg to vreg[55]

/* rC *= alpha batchElements=[(12, 0, 0, 0), (13, 0, 0, 0)] */

/* apply mask, calc new C and issue writes */
_buffer_store_b128 v[88:91], v86, s[sgprSrdD:sgprSrdD+3], 0, offen, offset:0 // store D
_buffer_store_b128 v[92:95], v87, s[sgprSrdD:sgprSrdD+3], 0, offen, offset:0 // store D
s_nop 0                                            // 1 wait state required when next inst writes vgprs held by previous dwordx4 store inst
/* optSingleColVgpr=0 optSharedColVgpr=0 optSGPRUsage=BufferLoad_Edge_Mask optSrdIncForRow=0 */

/******************************************/
/* Global Write Alpha Edge Batch #7 (d1,d0,vc1,vc0) = */
/*    (14,0,0,0:vw1); (15,0,0,0:vw1)      */
/******************************************/

/* calc coords, apply mask, and issue loads (if necessary) */
/* (d1,vc1,d0,vc0)=(14,0,0,0) */
_v_add_co_u32 v81, vcc, v81, 4                     // coord1.1: coord1Vgpr += d1*sg1*VW + vc1

/* Fix for UseInitialStridesCD, emitAddressSetupCode */
s_mul_i32 s62, s[sgprStrideC1J], 4                 // scale stride
_v_add_u32 v82, v82, s62                           // ROWINC- Move cinRowPtr to next row
s_mul_i32 s62, s[sgprStrideD1J], 4                 // scale stride
_v_add_u32 v83, v83, s62                           // Move coutRowPtr to next row
v_cmp_lt_u32 s[62:63], v80, s[sgprSizeI]           // coord0 < size0
v_cmp_lt_u32 s[66:67], v81, s[sgprSizeJ]           // coord1 < size1
s_and_b64 s[66:67], s[62:63], s[66:67]             // in0 && in1
_v_add_lshl_u32 v86, v83, v80, 0x4                 // scaleToBpe: accumulate d0 lower and *= bpe into Cin addr
v_cndmask_b32 v86, -1, v86, s[66:67]               // LDD clip if OOB. offset
/* (d1,vc1,d0,vc0)=(15,0,0,0) */
_v_add_co_u32 v81, vcc, v81, 4                     // coord1.1: coord1Vgpr += d1*sg1*VW + vc1

/* Fix for UseInitialStridesCD, emitAddressSetupCode */
s_mul_i32 s62, s[sgprStrideC1J], 4                 // scale stride
_v_add_u32 v82, v82, s62                           // ROWINC- Move cinRowPtr to next row
s_mul_i32 s62, s[sgprStrideD1J], 4                 // scale stride
_v_add_u32 v83, v83, s62                           // Move coutRowPtr to next row
v_cmp_lt_u32 s[62:63], v80, s[sgprSizeI]           // coord0 < size0
v_cmp_lt_u32 s[66:67], v81, s[sgprSizeJ]           // coord1 < size1
s_and_b64 s[66:67], s[62:63], s[66:67]             // in0 && in1
_v_add_lshl_u32 v87, v83, v80, 0x4                 // scaleToBpe: accumulate d0 lower and *= bpe into Cin addr
v_cndmask_b32 v87, -1, v87, s[66:67]               // LDD clip if OOB. offset
v_mov_b32 v[vgprValuC+88], v[vgprValuC+28] // copy MI out reg to vreg[56]
v_mov_b32 v[vgprValuC+89], v[vgprValuC+29] // copy MI out reg to vreg[57]
v_mov_b32 v[vgprValuC+90], v[vgprValuC+68] // copy MI out reg to vreg[58]
v_mov_b32 v[vgprValuC+91], v[vgprValuC+69] // copy MI out reg to vreg[59]
v_mov_b32 v[vgprValuC+92], v[vgprValuC+30] // copy MI out reg to vreg[60]
v_mov_b32 v[vgprValuC+93], v[vgprValuC+31] // copy MI out reg to vreg[61]
v_mov_b32 v[vgprValuC+94], v[vgprValuC+70] // copy MI out reg to vreg[62]
v_mov_b32 v[vgprValuC+95], v[vgprValuC+71] // copy MI out reg to vreg[63]

/* rC *= alpha batchElements=[(14, 0, 0, 0), (15, 0, 0, 0)] */

/* apply mask, calc new C and issue writes */
_buffer_store_b128 v[88:91], v86, s[sgprSrdD:sgprSrdD+3], 0, offen, offset:0 // store D
_buffer_store_b128 v[92:95], v87, s[sgprSrdD:sgprSrdD+3], 0, offen, offset:0 // store D
s_nop 0                                            // 1 wait state required when next inst writes vgprs held by previous dwordx4 store inst
/* optSingleColVgpr=0 optSharedColVgpr=0 optSGPRUsage=BufferLoad_Edge_Mask optSrdIncForRow=0 */

/******************************************/
/* Global Write Alpha Edge Batch #8 (d1,d0,vc1,vc0) = */
/*    (16,0,0,0:vw1); (17,0,0,0:vw1)      */
/******************************************/

/* calc coords, apply mask, and issue loads (if necessary) */
/* (d1,vc1,d0,vc0)=(16,0,0,0) */
_v_add_co_u32 v81, vcc, v81, 4                     // coord1.1: coord1Vgpr += d1*sg1*VW + vc1

/* Fix for UseInitialStridesCD, emitAddressSetupCode */
s_mul_i32 s62, s[sgprStrideC1J], 4                 // scale stride
_v_add_u32 v82, v82, s62                           // ROWINC- Move cinRowPtr to next row
s_mul_i32 s62, s[sgprStrideD1J], 4                 // scale stride
_v_add_u32 v83, v83, s62                           // Move coutRowPtr to next row
v_cmp_lt_u32 s[62:63], v80, s[sgprSizeI]           // coord0 < size0
v_cmp_lt_u32 s[66:67], v81, s[sgprSizeJ]           // coord1 < size1
s_and_b64 s[66:67], s[62:63], s[66:67]             // in0 && in1
_v_add_lshl_u32 v86, v83, v80, 0x4                 // scaleToBpe: accumulate d0 lower and *= bpe into Cin addr
v_cndmask_b32 v86, -1, v86, s[66:67]               // LDD clip if OOB. offset
/* (d1,vc1,d0,vc0)=(17,0,0,0) */
_v_add_co_u32 v81, vcc, v81, 4                     // coord1.1: coord1Vgpr += d1*sg1*VW + vc1

/* Fix for UseInitialStridesCD, emitAddressSetupCode */
s_mul_i32 s62, s[sgprStrideC1J], 4                 // scale stride
_v_add_u32 v82, v82, s62                           // ROWINC- Move cinRowPtr to next row
s_mul_i32 s62, s[sgprStrideD1J], 4                 // scale stride
_v_add_u32 v83, v83, s62                           // Move coutRowPtr to next row
v_cmp_lt_u32 s[62:63], v80, s[sgprSizeI]           // coord0 < size0
v_cmp_lt_u32 s[66:67], v81, s[sgprSizeJ]           // coord1 < size1
s_and_b64 s[66:67], s[62:63], s[66:67]             // in0 && in1
_v_add_lshl_u32 v87, v83, v80, 0x4                 // scaleToBpe: accumulate d0 lower and *= bpe into Cin addr
v_cndmask_b32 v87, -1, v87, s[66:67]               // LDD clip if OOB. offset
v_mov_b32 v[vgprValuC+88], v[vgprValuC+32] // copy MI out reg to vreg[64]
v_mov_b32 v[vgprValuC+89], v[vgprValuC+33] // copy MI out reg to vreg[65]
v_mov_b32 v[vgprValuC+90], v[vgprValuC+72] // copy MI out reg to vreg[66]
v_mov_b32 v[vgprValuC+91], v[vgprValuC+73] // copy MI out reg to vreg[67]
v_mov_b32 v[vgprValuC+92], v[vgprValuC+34] // copy MI out reg to vreg[68]
v_mov_b32 v[vgprValuC+93], v[vgprValuC+35] // copy MI out reg to vreg[69]
v_mov_b32 v[vgprValuC+94], v[vgprValuC+74] // copy MI out reg to vreg[70]
v_mov_b32 v[vgprValuC+95], v[vgprValuC+75] // copy MI out reg to vreg[71]

/* rC *= alpha batchElements=[(16, 0, 0, 0), (17, 0, 0, 0)] */

/* apply mask, calc new C and issue writes */
_buffer_store_b128 v[88:91], v86, s[sgprSrdD:sgprSrdD+3], 0, offen, offset:0 // store D
_buffer_store_b128 v[92:95], v87, s[sgprSrdD:sgprSrdD+3], 0, offen, offset:0 // store D
s_nop 0                                            // 1 wait state required when next inst writes vgprs held by previous dwordx4 store inst
/* optSingleColVgpr=0 optSharedColVgpr=0 optSGPRUsage=BufferLoad_Edge_Mask optSrdIncForRow=0 */

/******************************************/
/* Global Write Alpha Edge Batch #9 (d1,d0,vc1,vc0) = */
/*    (18,0,0,0:vw1); (19,0,0,0:vw1)      */
/******************************************/

/* calc coords, apply mask, and issue loads (if necessary) */
/* (d1,vc1,d0,vc0)=(18,0,0,0) */
_v_add_co_u32 v81, vcc, v81, 4                     // coord1.1: coord1Vgpr += d1*sg1*VW + vc1

/* Fix for UseInitialStridesCD, emitAddressSetupCode */
s_mul_i32 s62, s[sgprStrideC1J], 4                 // scale stride
_v_add_u32 v82, v82, s62                           // ROWINC- Move cinRowPtr to next row
s_mul_i32 s62, s[sgprStrideD1J], 4                 // scale stride
_v_add_u32 v83, v83, s62                           // Move coutRowPtr to next row
v_cmp_lt_u32 s[62:63], v80, s[sgprSizeI]           // coord0 < size0
v_cmp_lt_u32 s[66:67], v81, s[sgprSizeJ]           // coord1 < size1
s_and_b64 s[66:67], s[62:63], s[66:67]             // in0 && in1
_v_add_lshl_u32 v86, v83, v80, 0x4                 // scaleToBpe: accumulate d0 lower and *= bpe into Cin addr
v_cndmask_b32 v86, -1, v86, s[66:67]               // LDD clip if OOB. offset
/* (d1,vc1,d0,vc0)=(19,0,0,0) */
_v_add_co_u32 v81, vcc, v81, 4                     // coord1.1: coord1Vgpr += d1*sg1*VW + vc1

/* Fix for UseInitialStridesCD, emitAddressSetupCode */
s_mul_i32 s62, s[sgprStrideC1J], 4                 // scale stride
_v_add_u32 v82, v82, s62                           // ROWINC- Move cinRowPtr to next row
s_mul_i32 s62, s[sgprStrideD1J], 4                 // scale stride
_v_add_u32 v83, v83, s62                           // Move coutRowPtr to next row
v_cmp_lt_u32 s[62:63], v80, s[sgprSizeI]           // coord0 < size0
v_cmp_lt_u32 s[66:67], v81, s[sgprSizeJ]           // coord1 < size1
s_and_b64 s[66:67], s[62:63], s[66:67]             // in0 && in1
_v_add_lshl_u32 v87, v83, v80, 0x4                 // scaleToBpe: accumulate d0 lower and *= bpe into Cin addr
v_cndmask_b32 v87, -1, v87, s[66:67]               // LDD clip if OOB. offset
v_mov_b32 v[vgprValuC+88], v[vgprValuC+36] // copy MI out reg to vreg[72]
v_mov_b32 v[vgprValuC+89], v[vgprValuC+37] // copy MI out reg to vreg[73]
	;; [unrolled: 1-line block ×8, first 2 shown]

/* rC *= alpha batchElements=[(18, 0, 0, 0), (19, 0, 0, 0)] */

/* apply mask, calc new C and issue writes */
_buffer_store_b128 v[88:91], v86, s[sgprSrdD:sgprSrdD+3], 0, offen, offset:0 // store D
_buffer_store_b128 v[92:95], v87, s[sgprSrdD:sgprSrdD+3], 0, offen, offset:0 // store D
s_nop 0                                            // 1 wait state required when next inst writes vgprs held by previous dwordx4 store inst
s_branch label_GW_End_27                           // jump to end
label_GW_End_27:

label_0032:  /// KernelEnd
s_endpgm                                           // Kernel End

